;; amdgpu-corpus repo=zjin-lcf/HeCBench kind=compiled arch=gfx1250 opt=O3
	.amdgcn_target "amdgcn-amd-amdhsa--gfx1250"
	.amdhsa_code_object_version 6
	.text
	.p2align	2                               ; -- Begin function _Z15cuda_rys_pbf_dpPKdS0_S0_S0_
	.type	_Z15cuda_rys_pbf_dpPKdS0_S0_S0_,@function
_Z15cuda_rys_pbf_dpPKdS0_S0_S0_:        ; @_Z15cuda_rys_pbf_dpPKdS0_S0_S0_
; %bb.0:
	s_wait_loadcnt_dscnt 0x0
	s_wait_kmcnt 0x0
	s_mov_b32 s0, s33
	s_mov_b32 s33, s32
	s_or_saveexec_b32 s1, -1
	s_clause 0x2
	scratch_store_b32 off, v127, s33 offset:964
	; meta instruction
	scratch_store_b32 off, v126, s33 offset:968
	; meta instruction
	scratch_store_b32 off, v125, s33 offset:972
	s_wait_xcnt 0x0
	s_mov_b32 exec_lo, s1
	v_writelane_b32 v126, s0, 9
	s_addk_co_i32 s32, 0x3e0
	s_clause 0x2c
	scratch_store_b32 off, v40, s33 offset:176
	; meta instruction
	scratch_store_b32 off, v41, s33 offset:172
	; meta instruction
	;; [unrolled: 2-line block ×44, first 2 shown]
	scratch_store_b32 off, v124, s33
	v_writelane_b32 v127, s34, 0
	v_writelane_b32 v127, s35, 1
	;; [unrolled: 1-line block ×41, first 2 shown]
	s_wait_xcnt 0x2c
	v_mov_b32_e32 v40, v31
	s_clause 0x1
	flat_load_b128 v[50:53], v[2:3]
	flat_load_b128 v[92:95], v[2:3] offset:48
	s_clause 0x1
	flat_load_b128 v[104:107], v[0:1] offset:48
	flat_load_b128 v[8:11], v[0:1]
	flat_load_b128 v[30:33], v[2:3] offset:16
	s_clause 0x1
	flat_load_b128 v[36:39], v[6:7]
	flat_load_b128 v[108:111], v[6:7] offset:48
	flat_load_b128 v[12:15], v[0:1] offset:16
	;; [unrolled: 1-line block ×4, first 2 shown]
	s_clause 0x1
	flat_load_b128 v[20:23], v[4:5]
	flat_load_b128 v[16:19], v[4:5] offset:16
	s_mov_b64 s[48:49], s[4:5]
	s_mov_b32 s50, s15
	s_mov_b32 s51, s14
	;; [unrolled: 1-line block ×4, first 2 shown]
	s_mov_b64 s[34:35], s[10:11]
	s_mov_b64 s[36:37], s[8:9]
	;; [unrolled: 1-line block ×3, first 2 shown]
	s_wait_loadcnt_dscnt 0xb0b
	scratch_store_b128 off, v[50:53], s33 offset:712 ; 16-byte Folded Spill
	s_wait_loadcnt_dscnt 0xa0a
	v_mul_f64_e32 v[48:49], v[50:51], v[92:93]
	s_wait_loadcnt_dscnt 0x909
	v_add_f64_e32 v[64:65], v[104:105], v[92:93]
	s_wait_xcnt 0x0
	v_mul_f64_e32 v[52:53], v[52:53], v[92:93]
	s_wait_loadcnt_dscnt 0x707
	v_mul_f64_e32 v[50:51], v[30:31], v[92:93]
	v_cvt_i32_f64_e32 v41, v[32:33]
	s_wait_loadcnt_dscnt 0x505
	v_mul_f64_e32 v[54:55], v[36:37], v[108:109]
	v_mul_f64_e32 v[70:71], v[38:39], v[108:109]
	s_wait_loadcnt_dscnt 0x303
	v_add_f64_e32 v[66:67], v[120:121], v[108:109]
	s_wait_loadcnt_dscnt 0x202
	v_mul_f64_e32 v[86:87], v[24:25], v[108:109]
	v_fmac_f64_e32 v[48:49], v[8:9], v[104:105]
	v_fmac_f64_e32 v[52:53], v[10:11], v[104:105]
	;; [unrolled: 1-line block ×3, first 2 shown]
	s_wait_loadcnt_dscnt 0x101
	v_fmac_f64_e32 v[54:55], v[20:21], v[120:121]
	v_fmac_f64_e32 v[70:71], v[22:23], v[120:121]
	v_mul_f64_e32 v[28:29], v[64:65], v[66:67]
	v_add_f64_e32 v[96:97], v[64:65], v[66:67]
	s_wait_loadcnt_dscnt 0x0
	v_fmac_f64_e32 v[86:87], v[16:17], v[120:121]
	v_div_scale_f64 v[68:69], null, v[64:65], v[64:65], v[48:49]
	v_div_scale_f64 v[82:83], null, v[64:65], v[64:65], v[52:53]
	;; [unrolled: 1-line block ×7, first 2 shown]
	v_div_scale_f64 v[74:75], vcc_lo, v[48:49], v[64:65], v[48:49]
	v_div_scale_f64 v[90:91], s0, v[52:53], v[64:65], v[52:53]
	v_rcp_f64_e32 v[80:81], v[68:69]
	v_rcp_f64_e32 v[118:119], v[82:83]
	v_rcp_f64_e32 v[42:43], v[84:85]
	v_rcp_f64_e32 v[46:47], v[102:103]
	v_rcp_f64_e32 v[62:63], v[58:59]
	s_delay_alu instid0(VALU_DEP_4) | instskip(NEXT) | instid1(VALU_DEP_3)
	v_rcp_f64_e32 v[56:57], v[116:117]
	v_rcp_f64_e32 v[60:61], v[44:45]
	v_fma_f64 v[98:99], -v[68:69], v[80:81], 1.0
	v_fma_f64 v[100:101], -v[84:85], v[42:43], 1.0
	;; [unrolled: 1-line block ×3, first 2 shown]
	s_delay_alu instid0(TRANS32_DEP_2) | instskip(NEXT) | instid1(TRANS32_DEP_1)
	v_fma_f64 v[72:73], -v[116:117], v[56:57], 1.0
	v_fma_f64 v[76:77], -v[44:45], v[60:61], 1.0
	v_fmac_f64_e32 v[80:81], v[80:81], v[98:99]
	v_fma_f64 v[98:99], -v[82:83], v[118:119], 1.0
	v_fmac_f64_e32 v[42:43], v[42:43], v[100:101]
	v_fmac_f64_e32 v[46:47], v[46:47], v[114:115]
	s_delay_alu instid0(TRANS32_DEP_3)
	v_fma_f64 v[114:115], -v[58:59], v[62:63], 1.0
	v_fmac_f64_e32 v[56:57], v[56:57], v[72:73]
	v_fmac_f64_e32 v[60:61], v[60:61], v[76:77]
	v_fma_f64 v[112:113], -v[68:69], v[80:81], 1.0
	v_fmac_f64_e32 v[118:119], v[118:119], v[98:99]
	flat_load_b128 v[98:101], v[0:1] offset:32
	flat_load_b128 v[0:3], v[2:3] offset:32
	v_fma_f64 v[72:73], -v[84:85], v[42:43], 1.0
	v_fma_f64 v[78:79], -v[102:103], v[46:47], 1.0
	v_fmac_f64_e32 v[62:63], v[62:63], v[114:115]
	v_fma_f64 v[88:89], -v[116:117], v[56:57], 1.0
	v_fmac_f64_e32 v[80:81], v[80:81], v[112:113]
	v_fma_f64 v[112:113], -v[82:83], v[118:119], 1.0
	v_fmac_f64_e32 v[42:43], v[42:43], v[72:73]
	v_div_scale_f64 v[72:73], s1, v[50:51], v[64:65], v[50:51]
	v_fmac_f64_e32 v[46:47], v[46:47], v[78:79]
	v_div_scale_f64 v[78:79], s2, v[54:55], v[66:67], v[54:55]
	v_fmac_f64_e32 v[56:57], v[56:57], v[88:89]
	v_mul_f64_e32 v[76:77], v[74:75], v[80:81]
	v_fmac_f64_e32 v[118:119], v[118:119], v[112:113]
	flat_load_b128 v[112:115], v[4:5] offset:32
	flat_load_b128 v[4:7], v[6:7] offset:32
	v_mul_f64_e32 v[88:89], v[78:79], v[46:47]
	v_fma_f64 v[68:69], -v[68:69], v[76:77], v[74:75]
	v_mul_f64_e32 v[74:75], v[90:91], v[118:119]
	s_delay_alu instid0(VALU_DEP_3) | instskip(SKIP_1) | instid1(VALU_DEP_4)
	v_fma_f64 v[102:103], -v[102:103], v[88:89], v[78:79]
	v_fma_f64 v[78:79], -v[44:45], v[60:61], 1.0
	v_div_fmas_f64 v[76:77], v[68:69], v[80:81], v[76:77]
	v_mul_f64_e32 v[68:69], v[72:73], v[42:43]
	v_div_scale_f64 v[80:81], s3, v[70:71], v[66:67], v[70:71]
	v_fma_f64 v[82:83], -v[82:83], v[74:75], v[90:91]
	v_mov_b64_e32 v[90:91], v[28:29]
	s_mov_b32 vcc_lo, s0
	v_mov_b64_e32 v[28:29], v[30:31]
	v_fmac_f64_e32 v[60:61], v[60:61], v[78:79]
	v_fma_f64 v[78:79], -v[58:59], v[62:63], 1.0
	v_fma_f64 v[84:85], -v[84:85], v[68:69], v[72:73]
	v_mul_f64_e32 v[72:73], v[80:81], v[56:57]
	v_div_fmas_f64 v[82:83], v[82:83], v[118:119], v[74:75]
	s_mov_b32 vcc_lo, s1
	s_delay_alu instid0(VALU_DEP_4) | instskip(NEXT) | instid1(VALU_DEP_4)
	v_fmac_f64_e32 v[62:63], v[62:63], v[78:79]
	v_div_fmas_f64 v[84:85], v[84:85], v[42:43], v[68:69]
	s_delay_alu instid0(VALU_DEP_4)
	v_fma_f64 v[80:81], -v[116:117], v[72:73], v[80:81]
	v_div_scale_f64 v[116:117], s4, v[86:87], v[66:67], v[86:87]
	v_div_scale_f64 v[42:43], s0, v[90:91], v[96:97], v[90:91]
	s_mov_b32 vcc_lo, s2
	v_div_fixup_f64 v[68:69], v[82:83], v[64:65], v[52:53]
	v_div_fmas_f64 v[102:103], v[102:103], v[46:47], v[88:89]
	s_mov_b32 vcc_lo, s3
	v_div_fixup_f64 v[84:85], v[84:85], v[64:65], v[50:51]
	v_div_fmas_f64 v[80:81], v[80:81], v[56:57], v[72:73]
	v_mul_f64_e32 v[118:119], v[116:117], v[60:61]
	s_mov_b32 vcc_lo, s4
	s_delay_alu instid0(VALU_DEP_4) | instskip(NEXT) | instid1(VALU_DEP_3)
	v_div_fixup_f64 v[82:83], v[102:103], v[66:67], v[54:55]
	v_div_fixup_f64 v[80:81], v[80:81], v[66:67], v[70:71]
	s_delay_alu instid0(VALU_DEP_3) | instskip(SKIP_2) | instid1(VALU_DEP_4)
	v_fma_f64 v[52:53], -v[44:45], v[118:119], v[116:117]
	v_mul_f64_e32 v[116:117], v[42:43], v[62:63]
	v_div_fixup_f64 v[70:71], v[76:77], v[64:65], v[48:49]
	v_add_f64_e64 v[48:49], v[68:69], -v[80:81]
	s_delay_alu instid0(VALU_DEP_4) | instskip(NEXT) | instid1(VALU_DEP_4)
	v_div_fmas_f64 v[52:53], v[52:53], v[60:61], v[118:119]
	v_fma_f64 v[54:55], -v[58:59], v[116:117], v[42:43]
	s_mov_b32 vcc_lo, s0
	v_cvt_i32_f64_e32 v119, v[14:15]
	v_add_f64_e64 v[50:51], v[70:71], -v[82:83]
	v_cvt_i32_f64_e32 v59, v[18:19]
	s_mov_b32 s0, exec_lo
	v_mul_f64_e32 v[48:49], v[48:49], v[48:49]
	v_div_fixup_f64 v[86:87], v[52:53], v[66:67], v[86:87]
	v_div_fmas_f64 v[52:53], v[54:55], v[62:63], v[116:117]
	s_wait_loadcnt_dscnt 0x303
	v_cvt_i32_f64_e32 v117, v[98:99]
	v_cvt_i32_f64_e32 v116, v[100:101]
	s_wait_loadcnt_dscnt 0x202
	v_cvt_i32_f64_e32 v42, v[0:1]
	v_cvt_i32_f64_e32 v43, v[2:3]
	;; [unrolled: 1-line block ×3, first 2 shown]
	v_fmac_f64_e32 v[48:49], v[50:51], v[50:51]
	v_add_f64_e64 v[50:51], v[84:85], -v[86:87]
	v_add_nc_u32_e32 v0, v117, v119
	scratch_store_b32 off, v1, s33 offset:876 ; 4-byte Folded Spill
	v_add3_u32 v0, v0, v116, v41
	s_delay_alu instid0(VALU_DEP_1)
	v_add3_u32 v0, v0, v42, v43
	s_wait_loadcnt_dscnt 0x101
	v_cvt_i32_f64_e32 v58, v[112:113]
	v_cvt_i32_f64_e32 v118, v[114:115]
	s_wait_loadcnt_dscnt 0x0
	v_cvt_i32_f64_e32 v45, v[4:5]
	v_cvt_i32_f64_e32 v46, v[6:7]
	v_fmac_f64_e32 v[48:49], v[50:51], v[50:51]
	v_add3_u32 v0, v0, v59, v58
	s_delay_alu instid0(VALU_DEP_1) | instskip(NEXT) | instid1(VALU_DEP_1)
	v_add3_u32 v0, v0, v118, v1
	v_add3_u32 v56, v0, v45, v46
	s_delay_alu instid0(VALU_DEP_1) | instskip(NEXT) | instid1(VALU_DEP_1)
	v_lshrrev_b32_e32 v0, 31, v56
	v_add_nc_u32_e32 v0, v56, v0
	s_delay_alu instid0(VALU_DEP_1)
	v_ashrrev_i32_e32 v0, 1, v0
	scratch_store_b64 off, v[96:97], s33 offset:748 ; 8-byte Folded Spill
	s_wait_xcnt 0x0
	v_div_fixup_f64 v[96:97], v[52:53], v[96:97], v[90:91]
	scratch_store_b32 off, v0, s33 offset:744 ; 4-byte Folded Spill
	v_mul_f64_e32 v[14:15], v[96:97], v[48:49]
	s_wait_xcnt 0x0
	v_cmpx_lt_i32_e32 5, v56
	s_xor_b32 s4, exec_lo, s0
	s_cbranch_execz .LBB0_82
; %bb.1:
	scratch_load_b32 v0, off, s33 offset:744 ; 4-byte Folded Reload
	s_mov_b32 s0, exec_lo
	s_wait_loadcnt 0x0
	v_cmpx_lt_i32_e32 3, v0
	s_xor_b32 s5, exec_lo, s0
	s_cbranch_execz .LBB0_41
; %bb.2:
	scratch_load_b32 v0, off, s33 offset:744 ; 4-byte Folded Reload
	s_mov_b32 s6, exec_lo
	s_wait_loadcnt 0x0
	v_cmpx_eq_u32_e32 4, v0
	s_cbranch_execz .LBB0_40
; %bb.3:
	s_mov_b64 s[0:1], 0x3e9421f5f40d8376
                                        ; implicit-def: $vgpr0_vgpr1
                                        ; implicit-def: $vgpr34_vgpr35
                                        ; implicit-def: $vgpr50_vgpr51
                                        ; implicit-def: $vgpr54_vgpr55
                                        ; implicit-def: $vgpr30_vgpr31
                                        ; implicit-def: $vgpr6_vgpr7
	s_delay_alu instid0(SALU_CYCLE_1) | instskip(SKIP_1) | instid1(SALU_CYCLE_1)
	v_cmp_ngt_f64_e32 vcc_lo, s[0:1], v[14:15]
	s_and_saveexec_b32 s0, vcc_lo
	s_xor_b32 s7, exec_lo, s0
	s_cbranch_execz .LBB0_37
; %bb.4:
                                        ; implicit-def: $vgpr0_vgpr1
                                        ; implicit-def: $vgpr34_vgpr35
                                        ; implicit-def: $vgpr50_vgpr51
                                        ; implicit-def: $vgpr54_vgpr55
                                        ; implicit-def: $vgpr30_vgpr31
                                        ; implicit-def: $vgpr6_vgpr7
	s_mov_b32 s0, exec_lo
	v_cmpx_ngt_f64_e32 1.0, v[14:15]
	s_xor_b32 s8, exec_lo, s0
	s_cbranch_execz .LBB0_34
; %bb.5:
                                        ; implicit-def: $vgpr0_vgpr1
                                        ; implicit-def: $vgpr34_vgpr35
                                        ; implicit-def: $vgpr50_vgpr51
                                        ; implicit-def: $vgpr54_vgpr55
                                        ; implicit-def: $vgpr30_vgpr31
                                        ; implicit-def: $vgpr6_vgpr7
	s_mov_b32 s0, exec_lo
	v_cmpx_ngt_f64_e32 0x40140000, v[14:15]
	s_xor_b32 s9, exec_lo, s0
	s_cbranch_execz .LBB0_31
; %bb.6:
                                        ; implicit-def: $vgpr0_vgpr1
                                        ; implicit-def: $vgpr34_vgpr35
                                        ; implicit-def: $vgpr50_vgpr51
                                        ; implicit-def: $vgpr54_vgpr55
                                        ; implicit-def: $vgpr30_vgpr31
                                        ; implicit-def: $vgpr6_vgpr7
	s_mov_b32 s0, exec_lo
	v_cmpx_ngt_f64_e32 0x40240000, v[14:15]
	;; [unrolled: 11-line block ×6, first 2 shown]
	s_xor_b32 s14, exec_lo, s0
	s_cbranch_execz .LBB0_16
; %bb.11:
	s_mov_b64 s[0:1], 0x3fe921fb54442d15
                                        ; implicit-def: $vgpr34_vgpr35
                                        ; implicit-def: $vgpr50_vgpr51
                                        ; implicit-def: $vgpr54_vgpr55
                                        ; implicit-def: $vgpr30_vgpr31
	s_delay_alu instid0(SALU_CYCLE_1) | instskip(SKIP_1) | instid1(VALU_DEP_2)
	v_div_scale_f64 v[0:1], null, v[14:15], v[14:15], s[0:1]
	v_div_scale_f64 v[6:7], vcc_lo, s[0:1], v[14:15], s[0:1]
	v_rcp_f64_e32 v[2:3], v[0:1]
	v_nop
	s_delay_alu instid0(TRANS32_DEP_1) | instskip(NEXT) | instid1(VALU_DEP_1)
	v_fma_f64 v[4:5], -v[0:1], v[2:3], 1.0
	v_fmac_f64_e32 v[2:3], v[2:3], v[4:5]
	s_delay_alu instid0(VALU_DEP_1) | instskip(NEXT) | instid1(VALU_DEP_1)
	v_fma_f64 v[4:5], -v[0:1], v[2:3], 1.0
	v_fmac_f64_e32 v[2:3], v[2:3], v[4:5]
	s_delay_alu instid0(VALU_DEP_1) | instskip(NEXT) | instid1(VALU_DEP_1)
	v_mul_f64_e32 v[4:5], v[6:7], v[2:3]
	v_fma_f64 v[0:1], -v[0:1], v[4:5], v[6:7]
	s_delay_alu instid0(VALU_DEP_1) | instskip(NEXT) | instid1(VALU_DEP_1)
	v_div_fmas_f64 v[0:1], v[0:1], v[2:3], v[4:5]
	v_div_fixup_f64 v[0:1], v[0:1], v[14:15], s[0:1]
	s_mov_b32 s1, exec_lo
	s_delay_alu instid0(VALU_DEP_1) | instskip(SKIP_1) | instid1(VALU_DEP_1)
	v_cmp_gt_f64_e32 vcc_lo, 0x10000000, v[0:1]
	v_cndmask_b32_e64 v2, 0, 0x100, vcc_lo
	v_ldexp_f64 v[0:1], v[0:1], v2
	s_delay_alu instid0(VALU_DEP_1) | instskip(SKIP_1) | instid1(TRANS32_DEP_1)
	v_rsq_f64_e32 v[2:3], v[0:1]
	v_nop
	v_mul_f64_e32 v[4:5], v[0:1], v[2:3]
	v_mul_f64_e32 v[2:3], 0.5, v[2:3]
	s_delay_alu instid0(VALU_DEP_1) | instskip(NEXT) | instid1(VALU_DEP_1)
	v_fma_f64 v[6:7], -v[2:3], v[4:5], 0.5
	v_fmac_f64_e32 v[4:5], v[4:5], v[6:7]
	v_fmac_f64_e32 v[2:3], v[2:3], v[6:7]
	s_delay_alu instid0(VALU_DEP_2) | instskip(NEXT) | instid1(VALU_DEP_1)
	v_fma_f64 v[6:7], -v[4:5], v[4:5], v[0:1]
	v_fmac_f64_e32 v[4:5], v[6:7], v[2:3]
	s_delay_alu instid0(VALU_DEP_1) | instskip(NEXT) | instid1(VALU_DEP_1)
	v_fma_f64 v[6:7], -v[4:5], v[4:5], v[0:1]
	v_fmac_f64_e32 v[4:5], v[6:7], v[2:3]
	v_cndmask_b32_e64 v2, 0, 0xffffff80, vcc_lo
	v_cmp_class_f64_e64 vcc_lo, v[0:1], 0x260
	s_delay_alu instid0(VALU_DEP_2) | instskip(NEXT) | instid1(VALU_DEP_1)
	v_ldexp_f64 v[2:3], v[4:5], v2
                                        ; implicit-def: $vgpr6_vgpr7
	v_dual_cndmask_b32 v19, v3, v1 :: v_dual_cndmask_b32 v18, v2, v0
                                        ; implicit-def: $vgpr0_vgpr1
	v_cmpx_ngt_f64_e32 0x404d8000, v[14:15]
	s_xor_b32 s2, exec_lo, s1
	s_cbranch_execz .LBB0_13
; %bb.12:
	v_add_f64_e32 v[0:1], 0xbfbe19cf34ee1a66, v[14:15]
	s_mov_b64 s[0:1], 0x3fbe19cf34ee1a66
	v_mul_f64_e32 v[54:55], 0x3fd15787acb87a1d, v[18:19]
	s_delay_alu instid0(VALU_DEP_2) | instskip(NEXT) | instid1(VALU_DEP_1)
	v_div_scale_f64 v[2:3], null, v[0:1], v[0:1], s[0:1]
	v_rcp_f64_e32 v[4:5], v[2:3]
	v_nop
	s_delay_alu instid0(TRANS32_DEP_1) | instskip(NEXT) | instid1(VALU_DEP_1)
	v_fma_f64 v[6:7], -v[2:3], v[4:5], 1.0
	v_fmac_f64_e32 v[4:5], v[4:5], v[6:7]
	s_delay_alu instid0(VALU_DEP_1) | instskip(NEXT) | instid1(VALU_DEP_1)
	v_fma_f64 v[6:7], -v[2:3], v[4:5], 1.0
	v_fmac_f64_e32 v[4:5], v[4:5], v[6:7]
	v_div_scale_f64 v[6:7], vcc_lo, s[0:1], v[0:1], s[0:1]
	s_delay_alu instid0(VALU_DEP_1) | instskip(NEXT) | instid1(VALU_DEP_1)
	v_mul_f64_e32 v[30:31], v[6:7], v[4:5]
	v_fma_f64 v[2:3], -v[2:3], v[30:31], v[6:7]
	s_delay_alu instid0(VALU_DEP_1) | instskip(NEXT) | instid1(VALU_DEP_1)
	v_div_fmas_f64 v[2:3], v[2:3], v[4:5], v[30:31]
	v_div_fixup_f64 v[0:1], v[2:3], v[0:1], s[0:1]
	v_add_f64_e32 v[2:3], 0xbff13167efcf0c01, v[14:15]
	s_mov_b64 s[0:1], 0x3ff13167efcf0c01
	s_delay_alu instid0(VALU_DEP_1) | instid1(SALU_CYCLE_1)
	v_div_scale_f64 v[4:5], null, v[2:3], v[2:3], s[0:1]
	s_delay_alu instid0(VALU_DEP_1) | instskip(SKIP_1) | instid1(TRANS32_DEP_1)
	v_rcp_f64_e32 v[6:7], v[4:5]
	v_nop
	v_fma_f64 v[30:31], -v[4:5], v[6:7], 1.0
	s_delay_alu instid0(VALU_DEP_1) | instskip(NEXT) | instid1(VALU_DEP_1)
	v_fmac_f64_e32 v[6:7], v[6:7], v[30:31]
	v_fma_f64 v[30:31], -v[4:5], v[6:7], 1.0
	s_delay_alu instid0(VALU_DEP_1) | instskip(SKIP_1) | instid1(VALU_DEP_1)
	v_fmac_f64_e32 v[6:7], v[6:7], v[30:31]
	v_div_scale_f64 v[30:31], vcc_lo, s[0:1], v[2:3], s[0:1]
	v_mul_f64_e32 v[34:35], v[30:31], v[6:7]
	s_delay_alu instid0(VALU_DEP_1) | instskip(NEXT) | instid1(VALU_DEP_1)
	v_fma_f64 v[4:5], -v[4:5], v[34:35], v[30:31]
	v_div_fmas_f64 v[4:5], v[4:5], v[6:7], v[34:35]
	s_delay_alu instid0(VALU_DEP_1)
	v_div_fixup_f64 v[2:3], v[4:5], v[2:3], s[0:1]
	v_add_f64_e32 v[4:5], 0xc008affff872263f, v[14:15]
	s_mov_b64 s[0:1], 0x4008affff872263f
	s_delay_alu instid0(VALU_DEP_1) | instid1(SALU_CYCLE_1)
	v_div_scale_f64 v[6:7], null, v[4:5], v[4:5], s[0:1]
	s_delay_alu instid0(VALU_DEP_1) | instskip(SKIP_1) | instid1(TRANS32_DEP_1)
	v_rcp_f64_e32 v[30:31], v[6:7]
	v_nop
	v_fma_f64 v[34:35], -v[6:7], v[30:31], 1.0
	s_delay_alu instid0(VALU_DEP_1) | instskip(NEXT) | instid1(VALU_DEP_1)
	v_fmac_f64_e32 v[30:31], v[30:31], v[34:35]
	v_fma_f64 v[34:35], -v[6:7], v[30:31], 1.0
	s_delay_alu instid0(VALU_DEP_1) | instskip(SKIP_1) | instid1(VALU_DEP_1)
	v_fmac_f64_e32 v[30:31], v[30:31], v[34:35]
	v_div_scale_f64 v[34:35], vcc_lo, s[0:1], v[4:5], s[0:1]
	v_mul_f64_e32 v[48:49], v[34:35], v[30:31]
	s_delay_alu instid0(VALU_DEP_1) | instskip(NEXT) | instid1(VALU_DEP_1)
	v_fma_f64 v[6:7], -v[6:7], v[48:49], v[34:35]
	v_div_fmas_f64 v[6:7], v[6:7], v[30:31], v[48:49]
	s_delay_alu instid0(VALU_DEP_1) | instskip(SKIP_3) | instid1(VALU_DEP_2)
	v_div_fixup_f64 v[4:5], v[6:7], v[4:5], s[0:1]
	v_add_f64_e32 v[6:7], 0xc019a8aee94b0762, v[14:15]
	s_mov_b64 s[0:1], 0x4019a8aee94b0762
	v_add_f64_e32 v[14:15], 0xc0279d47f0da34ed, v[14:15]
	v_div_scale_f64 v[30:31], null, v[6:7], v[6:7], s[0:1]
	s_delay_alu instid0(VALU_DEP_1) | instskip(SKIP_1) | instid1(TRANS32_DEP_1)
	v_rcp_f64_e32 v[34:35], v[30:31]
	v_nop
	v_fma_f64 v[48:49], -v[30:31], v[34:35], 1.0
	s_delay_alu instid0(VALU_DEP_1) | instskip(NEXT) | instid1(VALU_DEP_1)
	v_fmac_f64_e32 v[34:35], v[34:35], v[48:49]
	v_fma_f64 v[48:49], -v[30:31], v[34:35], 1.0
	s_delay_alu instid0(VALU_DEP_1) | instskip(SKIP_1) | instid1(VALU_DEP_1)
	v_fmac_f64_e32 v[34:35], v[34:35], v[48:49]
	v_div_scale_f64 v[48:49], vcc_lo, s[0:1], v[6:7], s[0:1]
	v_mul_f64_e32 v[50:51], v[48:49], v[34:35]
	s_delay_alu instid0(VALU_DEP_1) | instskip(NEXT) | instid1(VALU_DEP_1)
	v_fma_f64 v[30:31], -v[30:31], v[50:51], v[48:49]
	v_div_fmas_f64 v[30:31], v[30:31], v[34:35], v[50:51]
	s_delay_alu instid0(VALU_DEP_1) | instskip(SKIP_1) | instid1(SALU_CYCLE_1)
	v_div_fixup_f64 v[6:7], v[30:31], v[6:7], s[0:1]
	s_mov_b64 s[0:1], 0x40279d47f0da34ed
	v_div_scale_f64 v[34:35], null, v[14:15], v[14:15], s[0:1]
	s_delay_alu instid0(VALU_DEP_1) | instskip(SKIP_1) | instid1(TRANS32_DEP_1)
	v_rcp_f64_e32 v[30:31], v[34:35]
	v_nop
	v_fma_f64 v[48:49], -v[34:35], v[30:31], 1.0
	s_delay_alu instid0(VALU_DEP_1) | instskip(NEXT) | instid1(VALU_DEP_1)
	v_fmac_f64_e32 v[30:31], v[30:31], v[48:49]
	v_fma_f64 v[48:49], -v[34:35], v[30:31], 1.0
	s_delay_alu instid0(VALU_DEP_1) | instskip(SKIP_1) | instid1(VALU_DEP_1)
	v_fmac_f64_e32 v[30:31], v[30:31], v[48:49]
	v_div_scale_f64 v[48:49], vcc_lo, s[0:1], v[14:15], s[0:1]
	v_mul_f64_e32 v[50:51], v[48:49], v[30:31]
	s_delay_alu instid0(VALU_DEP_1) | instskip(SKIP_1) | instid1(VALU_DEP_2)
	v_fma_f64 v[34:35], -v[34:35], v[50:51], v[48:49]
	v_mul_f64_e32 v[48:49], 0x3fa391fc74e7187a, v[18:19]
	v_div_fmas_f64 v[30:31], v[34:35], v[30:31], v[50:51]
	v_mul_f64_e32 v[50:51], 0x3f58d728ef7a4729, v[18:19]
	v_mul_f64_e32 v[34:35], 0x3ee214872c35b4c1, v[18:19]
	s_delay_alu instid0(VALU_DEP_3) | instskip(SKIP_1) | instid1(VALU_DEP_1)
	v_div_fixup_f64 v[30:31], v[30:31], v[14:15], s[0:1]
	v_fmamk_f64 v[14:15], v[18:19], 0xbfd15787acb87a1d, v[18:19]
	v_fmamk_f64 v[14:15], v[18:19], 0xbfa391fc74e7187a, v[14:15]
	s_delay_alu instid0(VALU_DEP_1) | instskip(NEXT) | instid1(VALU_DEP_1)
	v_fmamk_f64 v[14:15], v[18:19], 0xbf58d728ef7a4729, v[14:15]
	v_fmamk_f64 v[52:53], v[18:19], 0xbee214872c35b4c1, v[14:15]
                                        ; implicit-def: $vgpr14_vgpr15
                                        ; implicit-def: $vgpr18_vgpr19
.LBB0_13:
	s_and_not1_saveexec_b32 s15, s2
	s_cbranch_execz .LBB0_15
; %bb.14:
	v_cmp_eq_f64_e32 vcc_lo, 1.0, v[14:15]
	v_frexp_mant_f64_e32 v[2:3], v[14:15]
	v_mov_b32_e32 v0, 0x3ff00000
	s_mov_b64 s[0:1], 0x3fe5555555555555
	v_frexp_exp_i32_f64_e32 v4, v[14:15]
	s_mov_b64 s[2:3], 0xbfe62e42fefa39ef
	s_delay_alu instid0(VALU_DEP_2) | instskip(NEXT) | instid1(VALU_DEP_4)
	v_dual_cndmask_b32 v1, 0x40080000, v0 :: v_dual_mov_b32 v0, 0
	v_cmp_gt_f64_e32 vcc_lo, s[0:1], v[2:3]
	s_mov_b64 s[0:1], 0x3fbdee674222de17
	v_cndmask_b32_e64 v5, 0, 1, vcc_lo
	s_delay_alu instid0(VALU_DEP_4) | instskip(NEXT) | instid1(VALU_DEP_2)
	v_subrev_co_ci_u32_e64 v98, null, 0, v4, vcc_lo
	v_ldexp_f64 v[2:3], v[2:3], v5
	s_delay_alu instid0(VALU_DEP_1) | instskip(SKIP_1) | instid1(VALU_DEP_2)
	v_add_f64_e32 v[6:7], 1.0, v[2:3]
	v_add_f64_e32 v[4:5], -1.0, v[2:3]
	v_add_f64_e32 v[30:31], -1.0, v[6:7]
	s_delay_alu instid0(VALU_DEP_1) | instskip(SKIP_2) | instid1(TRANS32_DEP_1)
	v_add_f64_e64 v[2:3], v[2:3], -v[30:31]
	v_rcp_f64_e32 v[30:31], v[6:7]
	v_nop
	v_fma_f64 v[34:35], -v[6:7], v[30:31], 1.0
	s_delay_alu instid0(VALU_DEP_1) | instskip(NEXT) | instid1(VALU_DEP_1)
	v_fmac_f64_e32 v[30:31], v[34:35], v[30:31]
	v_fma_f64 v[34:35], -v[6:7], v[30:31], 1.0
	s_delay_alu instid0(VALU_DEP_1) | instskip(NEXT) | instid1(VALU_DEP_1)
	v_fmac_f64_e32 v[30:31], v[34:35], v[30:31]
	v_mul_f64_e32 v[34:35], v[4:5], v[30:31]
	s_delay_alu instid0(VALU_DEP_1) | instskip(NEXT) | instid1(VALU_DEP_1)
	v_mul_f64_e32 v[48:49], v[6:7], v[34:35]
	v_fma_f64 v[6:7], v[34:35], v[6:7], -v[48:49]
	s_delay_alu instid0(VALU_DEP_1) | instskip(NEXT) | instid1(VALU_DEP_1)
	v_fmac_f64_e32 v[6:7], v[34:35], v[2:3]
	v_add_f64_e32 v[2:3], v[48:49], v[6:7]
	s_delay_alu instid0(VALU_DEP_1) | instskip(SKIP_1) | instid1(VALU_DEP_2)
	v_add_f64_e64 v[50:51], v[4:5], -v[2:3]
	v_add_f64_e64 v[48:49], v[2:3], -v[48:49]
	;; [unrolled: 1-line block ×3, first 2 shown]
	s_delay_alu instid0(VALU_DEP_1) | instskip(NEXT) | instid1(VALU_DEP_3)
	v_add_f64_e64 v[2:3], v[4:5], -v[2:3]
	v_add_f64_e64 v[4:5], v[48:49], -v[6:7]
	s_delay_alu instid0(VALU_DEP_1) | instskip(NEXT) | instid1(VALU_DEP_1)
	v_add_f64_e32 v[2:3], v[4:5], v[2:3]
	v_add_f64_e32 v[2:3], v[50:51], v[2:3]
	s_delay_alu instid0(VALU_DEP_1) | instskip(NEXT) | instid1(VALU_DEP_1)
	v_mul_f64_e32 v[2:3], v[30:31], v[2:3]
	v_add_f64_e32 v[48:49], v[34:35], v[2:3]
	s_delay_alu instid0(VALU_DEP_1) | instskip(SKIP_1) | instid1(VALU_DEP_2)
	v_add_f64_e64 v[4:5], v[48:49], -v[34:35]
	v_ldexp_f64 v[30:31], v[48:49], 1
	v_add_f64_e64 v[34:35], v[2:3], -v[4:5]
	v_mul_f64_e32 v[2:3], v[48:49], v[48:49]
	s_delay_alu instid0(VALU_DEP_2) | instskip(NEXT) | instid1(VALU_DEP_2)
	v_add_f64_e32 v[6:7], v[34:35], v[34:35]
	v_fma_f64 v[4:5], v[48:49], v[48:49], -v[2:3]
	s_delay_alu instid0(VALU_DEP_1) | instskip(NEXT) | instid1(VALU_DEP_1)
	v_fmac_f64_e32 v[4:5], v[48:49], v[6:7]
	v_add_f64_e32 v[50:51], v[2:3], v[4:5]
	s_delay_alu instid0(VALU_DEP_1) | instskip(NEXT) | instid1(VALU_DEP_1)
	v_add_f64_e64 v[2:3], v[50:51], -v[2:3]
	v_add_f64_e64 v[52:53], v[4:5], -v[2:3]
	v_fmaak_f64 v[2:3], s[0:1], v[50:51], 0x3fba6564968915a9
	s_mov_b64 s[0:1], 0x3fe62e42fefa39ef
	s_delay_alu instid0(VALU_DEP_1) | instskip(NEXT) | instid1(VALU_DEP_1)
	v_fmaak_f64 v[2:3], v[50:51], v[2:3], 0x3fbe25e43abe935a
	v_fmaak_f64 v[2:3], v[50:51], v[2:3], 0x3fc110ef47e6c9c2
	s_delay_alu instid0(VALU_DEP_1) | instskip(NEXT) | instid1(VALU_DEP_1)
	v_fmaak_f64 v[2:3], v[50:51], v[2:3], 0x3fc3b13bcfa74449
	v_fmaak_f64 v[2:3], v[50:51], v[2:3], 0x3fc745d171bf3c30
	;; [unrolled: 3-line block ×3, first 2 shown]
	s_delay_alu instid0(VALU_DEP_1) | instskip(SKIP_2) | instid1(VALU_DEP_2)
	v_fmaak_f64 v[54:55], v[50:51], v[2:3], 0x3fd999999999999c
	v_cvt_f64_i32_e32 v[2:3], v98
	v_mul_f64_e32 v[98:99], v[48:49], v[50:51]
	v_mul_f64_e32 v[6:7], 0x3fe62e42fefa39ef, v[2:3]
	s_delay_alu instid0(VALU_DEP_2) | instskip(NEXT) | instid1(VALU_DEP_2)
	v_fma_f64 v[100:101], v[50:51], v[48:49], -v[98:99]
	v_fma_f64 v[4:5], v[2:3], s[0:1], -v[6:7]
	s_delay_alu instid0(VALU_DEP_2) | instskip(NEXT) | instid1(VALU_DEP_2)
	v_fmac_f64_e32 v[100:101], v[50:51], v[34:35]
	v_fmamk_f64 v[2:3], v[2:3], 0x3c7abc9e3b39803f, v[4:5]
	s_delay_alu instid0(VALU_DEP_2) | instskip(NEXT) | instid1(VALU_DEP_2)
	v_fmac_f64_e32 v[100:101], v[52:53], v[48:49]
	v_add_f64_e32 v[4:5], v[6:7], v[2:3]
	s_delay_alu instid0(VALU_DEP_1) | instskip(NEXT) | instid1(VALU_DEP_1)
	v_add_f64_e64 v[6:7], v[4:5], -v[6:7]
	v_add_f64_e64 v[2:3], v[2:3], -v[6:7]
	v_ldexp_f64 v[6:7], v[34:35], 1
	v_add_f64_e32 v[34:35], v[98:99], v[100:101]
	s_delay_alu instid0(VALU_DEP_1) | instskip(SKIP_1) | instid1(VALU_DEP_2)
	v_add_f64_e64 v[48:49], v[34:35], -v[98:99]
	v_mul_f64_e32 v[98:99], v[50:51], v[54:55]
	v_add_f64_e64 v[48:49], v[100:101], -v[48:49]
	s_delay_alu instid0(VALU_DEP_2) | instskip(NEXT) | instid1(VALU_DEP_1)
	v_fma_f64 v[50:51], v[50:51], v[54:55], -v[98:99]
	v_fmac_f64_e32 v[50:51], v[52:53], v[54:55]
	s_delay_alu instid0(VALU_DEP_1) | instskip(NEXT) | instid1(VALU_DEP_1)
	v_add_f64_e32 v[52:53], v[98:99], v[50:51]
	v_add_f64_e64 v[54:55], v[52:53], -v[98:99]
	s_delay_alu instid0(VALU_DEP_1) | instskip(SKIP_1) | instid1(VALU_DEP_2)
	v_add_f64_e64 v[50:51], v[50:51], -v[54:55]
	v_add_f64_e32 v[54:55], 0x3fe5555555555555, v[52:53]
	v_add_f64_e32 v[50:51], 0x3c8543b0d5df274d, v[50:51]
	s_delay_alu instid0(VALU_DEP_2) | instskip(NEXT) | instid1(VALU_DEP_1)
	v_add_f64_e32 v[98:99], 0xbfe5555555555555, v[54:55]
	v_add_f64_e64 v[52:53], v[52:53], -v[98:99]
	s_delay_alu instid0(VALU_DEP_1) | instskip(NEXT) | instid1(VALU_DEP_1)
	v_add_f64_e32 v[50:51], v[50:51], v[52:53]
	v_add_f64_e32 v[52:53], v[54:55], v[50:51]
	s_delay_alu instid0(VALU_DEP_1) | instskip(NEXT) | instid1(VALU_DEP_1)
	v_add_f64_e64 v[54:55], v[54:55], -v[52:53]
	v_add_f64_e32 v[50:51], v[50:51], v[54:55]
	v_mul_f64_e32 v[54:55], v[34:35], v[52:53]
	s_delay_alu instid0(VALU_DEP_1) | instskip(NEXT) | instid1(VALU_DEP_1)
	v_fma_f64 v[98:99], v[34:35], v[52:53], -v[54:55]
	v_fmac_f64_e32 v[98:99], v[34:35], v[50:51]
	s_delay_alu instid0(VALU_DEP_1) | instskip(SKIP_1) | instid1(VALU_DEP_2)
	v_fmac_f64_e32 v[98:99], v[48:49], v[52:53]
	v_mov_b64_e32 v[52:53], 0x3ec71dee623fde64
	v_add_f64_e32 v[34:35], v[54:55], v[98:99]
	s_delay_alu instid0(VALU_DEP_1) | instskip(SKIP_2) | instid1(VALU_DEP_3)
	v_add_f64_e64 v[48:49], v[34:35], -v[54:55]
	v_add_f64_e32 v[50:51], v[30:31], v[34:35]
	v_mov_b64_e32 v[54:55], 0x3e928af3fca7ab0c
	v_add_f64_e64 v[48:49], v[98:99], -v[48:49]
	s_delay_alu instid0(VALU_DEP_3) | instskip(NEXT) | instid1(VALU_DEP_2)
	v_add_f64_e64 v[30:31], v[50:51], -v[30:31]
	v_add_f64_e32 v[6:7], v[6:7], v[48:49]
	s_delay_alu instid0(VALU_DEP_2) | instskip(NEXT) | instid1(VALU_DEP_1)
	v_add_f64_e64 v[30:31], v[34:35], -v[30:31]
	v_add_f64_e32 v[6:7], v[6:7], v[30:31]
	s_delay_alu instid0(VALU_DEP_1) | instskip(NEXT) | instid1(VALU_DEP_1)
	v_add_f64_e32 v[30:31], v[50:51], v[6:7]
	v_add_f64_e64 v[34:35], v[30:31], -v[50:51]
	s_delay_alu instid0(VALU_DEP_1) | instskip(SKIP_1) | instid1(VALU_DEP_1)
	v_add_f64_e64 v[6:7], v[6:7], -v[34:35]
	v_add_f64_e32 v[34:35], v[4:5], v[30:31]
	v_add_f64_e64 v[48:49], v[34:35], -v[4:5]
	s_delay_alu instid0(VALU_DEP_1) | instskip(SKIP_1) | instid1(VALU_DEP_2)
	v_add_f64_e64 v[50:51], v[34:35], -v[48:49]
	v_add_f64_e64 v[30:31], v[30:31], -v[48:49]
	v_add_f64_e64 v[4:5], v[4:5], -v[50:51]
	s_delay_alu instid0(VALU_DEP_1) | instskip(SKIP_1) | instid1(VALU_DEP_1)
	v_add_f64_e32 v[4:5], v[30:31], v[4:5]
	v_add_f64_e32 v[30:31], v[2:3], v[6:7]
	v_add_f64_e64 v[48:49], v[30:31], -v[2:3]
	s_delay_alu instid0(VALU_DEP_3) | instskip(NEXT) | instid1(VALU_DEP_2)
	v_add_f64_e32 v[4:5], v[30:31], v[4:5]
	v_add_f64_e64 v[50:51], v[30:31], -v[48:49]
	v_add_f64_e64 v[6:7], v[6:7], -v[48:49]
	v_mov_b64_e32 v[48:49], 0x3f2a01a014761f6e
	s_delay_alu instid0(VALU_DEP_3) | instskip(SKIP_1) | instid1(VALU_DEP_2)
	v_add_f64_e64 v[2:3], v[2:3], -v[50:51]
	v_mov_b64_e32 v[50:51], 0x3efa01997c89e6b0
	v_add_f64_e32 v[2:3], v[6:7], v[2:3]
	v_add_f64_e32 v[6:7], v[34:35], v[4:5]
	s_delay_alu instid0(VALU_DEP_1) | instskip(NEXT) | instid1(VALU_DEP_1)
	v_add_f64_e64 v[30:31], v[6:7], -v[34:35]
	v_add_f64_e64 v[4:5], v[4:5], -v[30:31]
	v_mov_b64_e32 v[30:31], 0x3f56c16c1852b7b0
	s_delay_alu instid0(VALU_DEP_2) | instskip(NEXT) | instid1(VALU_DEP_1)
	v_add_f64_e32 v[2:3], v[2:3], v[4:5]
	v_add_f64_e32 v[4:5], v[6:7], v[2:3]
	s_delay_alu instid0(VALU_DEP_1) | instskip(NEXT) | instid1(VALU_DEP_1)
	v_add_f64_e64 v[6:7], v[4:5], -v[6:7]
	v_add_f64_e64 v[2:3], v[2:3], -v[6:7]
	v_mul_f64_e32 v[6:7], v[0:1], v[4:5]
	s_delay_alu instid0(VALU_DEP_1) | instskip(SKIP_1) | instid1(VALU_DEP_2)
	v_fma_f64 v[4:5], v[0:1], v[4:5], -v[6:7]
	v_cmp_class_f64_e64 vcc_lo, v[6:7], 0x204
	v_fmac_f64_e32 v[4:5], v[0:1], v[2:3]
	s_delay_alu instid0(VALU_DEP_1) | instskip(NEXT) | instid1(VALU_DEP_1)
	v_add_f64_e32 v[0:1], v[6:7], v[4:5]
	v_dual_cndmask_b32 v35, v1, v7 :: v_dual_cndmask_b32 v34, v0, v6
	v_add_f64_e64 v[2:3], v[0:1], -v[6:7]
	s_delay_alu instid0(VALU_DEP_2) | instskip(SKIP_2) | instid1(VALU_DEP_4)
	v_mul_f64_e32 v[0:1], 0x3ff71547652b82fe, v[34:35]
	v_cmp_neq_f64_e64 vcc_lo, 0x7ff00000, |v[34:35]|
	v_cmp_ngt_f64_e64 s0, 0xc090cc00, v[34:35]
	v_add_f64_e64 v[2:3], v[4:5], -v[2:3]
	s_delay_alu instid0(VALU_DEP_4) | instskip(NEXT) | instid1(VALU_DEP_2)
	v_rndne_f64_e32 v[100:101], v[0:1]
	v_dual_cndmask_b32 v99, 0, v3 :: v_dual_cndmask_b32 v98, 0, v2
	v_cmp_nlt_f64_e32 vcc_lo, 0x40900000, v[34:35]
	s_delay_alu instid0(VALU_DEP_3) | instskip(NEXT) | instid1(VALU_DEP_1)
	v_fmamk_f64 v[102:103], v[100:101], 0xbfe62e42fefa39ef, v[34:35]
	v_fmac_f64_e32 v[102:103], 0xbc7abc9e3b39803f, v[100:101]
	v_cvt_i32_f64_e32 v100, v[100:101]
	s_delay_alu instid0(VALU_DEP_2) | instskip(NEXT) | instid1(VALU_DEP_1)
	v_fmamk_f64 v[0:1], v[102:103], 0x3e5ade156a5dcb37, v[54:55]
	v_fmaak_f64 v[0:1], v[102:103], v[0:1], 0x3ec71dee623fde64
	s_delay_alu instid0(VALU_DEP_1) | instskip(NEXT) | instid1(VALU_DEP_1)
	v_fmaak_f64 v[0:1], v[102:103], v[0:1], 0x3efa01997c89e6b0
	v_fmaak_f64 v[0:1], v[102:103], v[0:1], 0x3f2a01a014761f6e
	s_delay_alu instid0(VALU_DEP_1) | instskip(SKIP_1) | instid1(VALU_DEP_2)
	v_fmaak_f64 v[2:3], v[102:103], v[0:1], 0x3f56c16c1852b7b0
	v_mov_b64_e32 v[0:1], 0x3f81111111122322
	v_fmaak_f64 v[4:5], v[102:103], v[2:3], 0x3f81111111122322
	v_mov_b64_e32 v[2:3], 0x3fa55555555502a1
	s_delay_alu instid0(VALU_DEP_2) | instskip(SKIP_1) | instid1(VALU_DEP_2)
	v_fmaak_f64 v[6:7], v[102:103], v[4:5], 0x3fa55555555502a1
	v_mov_b64_e32 v[4:5], 0x3fc5555555555511
	v_fmaak_f64 v[112:113], v[102:103], v[6:7], 0x3fc5555555555511
	v_mov_b64_e32 v[6:7], 0x3fe000000000000b
	s_delay_alu instid0(VALU_DEP_2) | instskip(NEXT) | instid1(VALU_DEP_1)
	v_fmaak_f64 v[112:113], v[102:103], v[112:113], 0x3fe000000000000b
	v_fma_f64 v[112:113], v[102:103], v[112:113], 1.0
	s_delay_alu instid0(VALU_DEP_1) | instskip(NEXT) | instid1(VALU_DEP_1)
	v_fma_f64 v[102:103], v[102:103], v[112:113], 1.0
	v_ldexp_f64 v[100:101], v[102:103], v100
	s_delay_alu instid0(VALU_DEP_1)
	v_cndmask_b32_e32 v101, 0x7ff00000, v101, vcc_lo
	s_and_b32 vcc_lo, s0, vcc_lo
	s_delay_alu instid0(VALU_DEP_1) | instid1(SALU_CYCLE_1)
	v_dual_cndmask_b32 v34, 0, v100, vcc_lo :: v_dual_cndmask_b32 v35, 0, v101, s0
	s_mov_b64 s[0:1], 0xbf98f5fbcaeb734b
	s_delay_alu instid0(VALU_DEP_1) | instskip(SKIP_1) | instid1(VALU_DEP_2)
	v_fma_f64 v[98:99], v[34:35], v[98:99], v[34:35]
	v_cmp_class_f64_e64 vcc_lo, v[34:35], 0x204
	v_dual_cndmask_b32 v35, v99, v35 :: v_dual_cndmask_b32 v34, v98, v34
	v_mul_f64_e32 v[98:99], 0xbff71547652b82fe, v[14:15]
	s_delay_alu instid0(VALU_DEP_1) | instskip(NEXT) | instid1(VALU_DEP_1)
	v_rndne_f64_e32 v[98:99], v[98:99]
	v_fma_f64 v[100:101], v[98:99], s[2:3], -v[14:15]
	s_delay_alu instid0(VALU_DEP_1) | instskip(NEXT) | instid1(VALU_DEP_1)
	v_fmac_f64_e32 v[100:101], 0xbc7abc9e3b39803f, v[98:99]
	v_fmac_f64_e32 v[54:55], 0x3e5ade156a5dcb37, v[100:101]
	s_delay_alu instid0(VALU_DEP_1) | instskip(NEXT) | instid1(VALU_DEP_1)
	v_fmac_f64_e32 v[52:53], v[100:101], v[54:55]
	v_fmac_f64_e32 v[50:51], v[100:101], v[52:53]
	;; [unrolled: 3-line block ×4, first 2 shown]
	s_delay_alu instid0(VALU_DEP_1) | instskip(SKIP_1) | instid1(VALU_DEP_2)
	v_fmac_f64_e32 v[4:5], v[100:101], v[2:3]
	v_cvt_i32_f64_e32 v2, v[98:99]
	v_fmac_f64_e32 v[6:7], v[100:101], v[4:5]
	s_delay_alu instid0(VALU_DEP_1) | instskip(NEXT) | instid1(VALU_DEP_1)
	v_fma_f64 v[0:1], v[100:101], v[6:7], 1.0
	v_fma_f64 v[0:1], v[100:101], v[0:1], 1.0
	s_delay_alu instid0(VALU_DEP_1) | instskip(NEXT) | instid1(VALU_DEP_1)
	v_ldexp_f64 v[0:1], v[0:1], v2
	v_mul_f64_e64 v[48:49], v[0:1], |v[34:35]|
	v_fmaak_f64 v[0:1], s[0:1], v[14:15], 0x400095893eaa0c05
	s_mov_b64 s[0:1], 0x3fbe19cf34ee1a66
	s_delay_alu instid0(VALU_DEP_1) | instskip(NEXT) | instid1(VALU_DEP_1)
	v_fmaak_f64 v[0:1], v[14:15], v[0:1], 0xc050262bc96ff243
	v_fmaak_f64 v[2:3], v[14:15], v[0:1], 0x40865147dc8f9da2
	v_add_f64_e32 v[0:1], 0xbfbe19cf34ee1a66, v[14:15]
	s_delay_alu instid0(VALU_DEP_1) | instskip(NEXT) | instid1(VALU_DEP_1)
	v_div_scale_f64 v[4:5], null, v[0:1], v[0:1], s[0:1]
	v_rcp_f64_e32 v[6:7], v[4:5]
	v_nop
	s_delay_alu instid0(TRANS32_DEP_1) | instskip(NEXT) | instid1(VALU_DEP_1)
	v_fma_f64 v[30:31], -v[4:5], v[6:7], 1.0
	v_fmac_f64_e32 v[6:7], v[6:7], v[30:31]
	s_delay_alu instid0(VALU_DEP_1) | instskip(NEXT) | instid1(VALU_DEP_1)
	v_fma_f64 v[30:31], -v[4:5], v[6:7], 1.0
	v_fmac_f64_e32 v[6:7], v[6:7], v[30:31]
	v_div_scale_f64 v[30:31], vcc_lo, s[0:1], v[0:1], s[0:1]
	s_delay_alu instid0(VALU_DEP_1) | instskip(NEXT) | instid1(VALU_DEP_1)
	v_mul_f64_e32 v[50:51], v[30:31], v[6:7]
	v_fma_f64 v[4:5], -v[4:5], v[50:51], v[30:31]
	s_delay_alu instid0(VALU_DEP_1) | instskip(NEXT) | instid1(VALU_DEP_1)
	v_div_fmas_f64 v[4:5], v[4:5], v[6:7], v[50:51]
	v_div_fixup_f64 v[0:1], v[4:5], v[0:1], s[0:1]
	s_mov_b64 s[0:1], 0xbfcd4b593ae66c31
	s_delay_alu instid0(VALU_DEP_1) | instskip(SKIP_2) | instid1(VALU_DEP_1)
	v_fmac_f64_e32 v[0:1], v[2:3], v[48:49]
	v_fmaak_f64 v[2:3], s[0:1], v[14:15], 0x403351af2077fa57
	s_mov_b64 s[0:1], 0x3ff13167efcf0c01
	v_fmaak_f64 v[2:3], v[14:15], v[2:3], 0xc082be32a5d22b7d
	s_delay_alu instid0(VALU_DEP_1) | instskip(SKIP_1) | instid1(VALU_DEP_1)
	v_fmaak_f64 v[4:5], v[14:15], v[2:3], 0x40b9da71102c9863
	v_add_f64_e32 v[2:3], 0xbff13167efcf0c01, v[14:15]
	v_div_scale_f64 v[6:7], null, v[2:3], v[2:3], s[0:1]
	s_delay_alu instid0(VALU_DEP_1) | instskip(SKIP_1) | instid1(TRANS32_DEP_1)
	v_rcp_f64_e32 v[30:31], v[6:7]
	v_nop
	v_fma_f64 v[50:51], -v[6:7], v[30:31], 1.0
	s_delay_alu instid0(VALU_DEP_1) | instskip(NEXT) | instid1(VALU_DEP_1)
	v_fmac_f64_e32 v[30:31], v[30:31], v[50:51]
	v_fma_f64 v[50:51], -v[6:7], v[30:31], 1.0
	s_delay_alu instid0(VALU_DEP_1) | instskip(SKIP_1) | instid1(VALU_DEP_1)
	v_fmac_f64_e32 v[30:31], v[30:31], v[50:51]
	v_div_scale_f64 v[50:51], vcc_lo, s[0:1], v[2:3], s[0:1]
	v_mul_f64_e32 v[52:53], v[50:51], v[30:31]
	s_delay_alu instid0(VALU_DEP_1) | instskip(NEXT) | instid1(VALU_DEP_1)
	v_fma_f64 v[6:7], -v[6:7], v[52:53], v[50:51]
	v_div_fmas_f64 v[6:7], v[6:7], v[30:31], v[52:53]
	s_delay_alu instid0(VALU_DEP_1) | instskip(SKIP_1) | instid1(VALU_DEP_1)
	v_div_fixup_f64 v[2:3], v[6:7], v[2:3], s[0:1]
	s_mov_b64 s[0:1], 0xbfe63ddfdf16f1a0
	v_fmac_f64_e32 v[2:3], v[4:5], v[48:49]
	v_fmaak_f64 v[4:5], s[0:1], v[14:15], 0x404cd7fd04e6da19
	s_mov_b64 s[0:1], 0x4008affff872263f
	s_delay_alu instid0(VALU_DEP_1) | instskip(NEXT) | instid1(VALU_DEP_1)
	v_fmaak_f64 v[4:5], v[14:15], v[4:5], 0xc09bc42a6d379456
	v_fmaak_f64 v[6:7], v[14:15], v[4:5], 0x40d31426ee4d3bca
	v_add_f64_e32 v[4:5], 0xc008affff872263f, v[14:15]
	s_delay_alu instid0(VALU_DEP_1) | instskip(NEXT) | instid1(VALU_DEP_1)
	v_div_scale_f64 v[30:31], null, v[4:5], v[4:5], s[0:1]
	v_rcp_f64_e32 v[50:51], v[30:31]
	v_nop
	s_delay_alu instid0(TRANS32_DEP_1) | instskip(NEXT) | instid1(VALU_DEP_1)
	v_fma_f64 v[52:53], -v[30:31], v[50:51], 1.0
	v_fmac_f64_e32 v[50:51], v[50:51], v[52:53]
	s_delay_alu instid0(VALU_DEP_1) | instskip(NEXT) | instid1(VALU_DEP_1)
	v_fma_f64 v[52:53], -v[30:31], v[50:51], 1.0
	v_fmac_f64_e32 v[50:51], v[50:51], v[52:53]
	v_div_scale_f64 v[52:53], vcc_lo, s[0:1], v[4:5], s[0:1]
	s_delay_alu instid0(VALU_DEP_1) | instskip(NEXT) | instid1(VALU_DEP_1)
	v_mul_f64_e32 v[54:55], v[52:53], v[50:51]
	v_fma_f64 v[30:31], -v[30:31], v[54:55], v[52:53]
	s_delay_alu instid0(VALU_DEP_1) | instskip(NEXT) | instid1(VALU_DEP_1)
	v_div_fmas_f64 v[30:31], v[30:31], v[50:51], v[54:55]
	v_div_fixup_f64 v[4:5], v[30:31], v[4:5], s[0:1]
	s_mov_b64 s[0:1], 0xbff94aa989e27eba
	s_delay_alu instid0(VALU_DEP_1) | instskip(SKIP_2) | instid1(VALU_DEP_1)
	v_fmac_f64_e32 v[4:5], v[6:7], v[48:49]
	v_fmaak_f64 v[6:7], s[0:1], v[14:15], 0x405fc34053392123
	s_mov_b64 s[0:1], 0x4019a8aee94b0762
	v_fmaak_f64 v[6:7], v[14:15], v[6:7], 0xc0ae35bf3c97222a
	s_delay_alu instid0(VALU_DEP_1) | instskip(SKIP_1) | instid1(VALU_DEP_1)
	v_fmaak_f64 v[30:31], v[14:15], v[6:7], 0x40e4a7cf73327300
	v_add_f64_e32 v[6:7], 0xc019a8aee94b0762, v[14:15]
	v_div_scale_f64 v[50:51], null, v[6:7], v[6:7], s[0:1]
	s_delay_alu instid0(VALU_DEP_1) | instskip(SKIP_1) | instid1(TRANS32_DEP_1)
	v_rcp_f64_e32 v[52:53], v[50:51]
	v_nop
	v_fma_f64 v[54:55], -v[50:51], v[52:53], 1.0
	s_delay_alu instid0(VALU_DEP_1) | instskip(NEXT) | instid1(VALU_DEP_1)
	v_fmac_f64_e32 v[52:53], v[52:53], v[54:55]
	v_fma_f64 v[54:55], -v[50:51], v[52:53], 1.0
	s_delay_alu instid0(VALU_DEP_1) | instskip(SKIP_1) | instid1(VALU_DEP_1)
	v_fmac_f64_e32 v[52:53], v[52:53], v[54:55]
	v_div_scale_f64 v[54:55], vcc_lo, s[0:1], v[6:7], s[0:1]
	v_mul_f64_e32 v[98:99], v[54:55], v[52:53]
	s_delay_alu instid0(VALU_DEP_1) | instskip(NEXT) | instid1(VALU_DEP_1)
	v_fma_f64 v[50:51], -v[50:51], v[98:99], v[54:55]
	v_div_fmas_f64 v[50:51], v[50:51], v[52:53], v[98:99]
	s_delay_alu instid0(VALU_DEP_1) | instskip(SKIP_1) | instid1(VALU_DEP_1)
	v_div_fixup_f64 v[6:7], v[50:51], v[6:7], s[0:1]
	s_mov_b64 s[0:1], 0xc00ab79449830b99
	v_fmac_f64_e32 v[6:7], v[30:31], v[48:49]
	v_fmaak_f64 v[30:31], s[0:1], v[14:15], 0x406f7a92d69c7571
	s_mov_b64 s[0:1], 0x40279d47f0da34ed
	s_delay_alu instid0(VALU_DEP_1) | instskip(NEXT) | instid1(VALU_DEP_1)
	v_fmaak_f64 v[30:31], v[14:15], v[30:31], 0xc0bd994907e24ae4
	v_fmaak_f64 v[50:51], v[14:15], v[30:31], 0x40f4114ae813dd3e
	v_add_f64_e32 v[30:31], 0xc0279d47f0da34ed, v[14:15]
	s_delay_alu instid0(VALU_DEP_1) | instskip(NEXT) | instid1(VALU_DEP_1)
	v_div_scale_f64 v[52:53], null, v[30:31], v[30:31], s[0:1]
	v_rcp_f64_e32 v[54:55], v[52:53]
	v_nop
	s_delay_alu instid0(TRANS32_DEP_1) | instskip(NEXT) | instid1(VALU_DEP_1)
	v_fma_f64 v[98:99], -v[52:53], v[54:55], 1.0
	v_fmac_f64_e32 v[54:55], v[54:55], v[98:99]
	s_delay_alu instid0(VALU_DEP_1) | instskip(NEXT) | instid1(VALU_DEP_1)
	v_fma_f64 v[98:99], -v[52:53], v[54:55], 1.0
	v_fmac_f64_e32 v[54:55], v[54:55], v[98:99]
	v_div_scale_f64 v[98:99], vcc_lo, s[0:1], v[30:31], s[0:1]
	s_delay_alu instid0(VALU_DEP_1) | instskip(NEXT) | instid1(VALU_DEP_1)
	v_mul_f64_e32 v[100:101], v[98:99], v[54:55]
	v_fma_f64 v[52:53], -v[52:53], v[100:101], v[98:99]
	s_delay_alu instid0(VALU_DEP_1) | instskip(NEXT) | instid1(VALU_DEP_1)
	v_div_fmas_f64 v[52:53], v[52:53], v[54:55], v[100:101]
	v_div_fixup_f64 v[30:31], v[52:53], v[30:31], s[0:1]
	v_mul_f64_e64 v[52:53], |v[34:35]|, v[48:49]
	s_mov_b64 s[0:1], 0x3e4d1839b2d9f96a
	s_delay_alu instid0(SALU_CYCLE_1) | instskip(SKIP_1) | instid1(VALU_DEP_1)
	v_fmaak_f64 v[34:35], s[0:1], v[14:15], 0xbe95fe3979905db7
	s_mov_b64 s[0:1], 0x3eb4b6be0cf07aea
	v_fmaak_f64 v[34:35], v[14:15], v[34:35], 0x3ec442a91af920fa
	s_delay_alu instid0(VALU_DEP_4) | instskip(SKIP_2) | instid1(VALU_DEP_3)
	v_fmac_f64_e32 v[30:31], v[50:51], v[48:49]
	v_fmaak_f64 v[48:49], s[0:1], v[14:15], 0xbf029fbe4f1d383e
	s_mov_b64 s[0:1], 0x3eec377ca8b0034c
	v_mul_f64_e32 v[34:35], v[34:35], v[52:53]
	s_delay_alu instid0(VALU_DEP_2) | instskip(NEXT) | instid1(VALU_DEP_1)
	v_fmaak_f64 v[48:49], v[14:15], v[48:49], 0x3f33e01ac17d817a
	v_mul_f64_e32 v[48:49], v[48:49], v[52:53]
	s_delay_alu instid0(VALU_DEP_3) | instskip(NEXT) | instid1(VALU_DEP_2)
	v_fmamk_f64 v[34:35], v[18:19], 0x3ee214872c35b4c1, v[34:35]
	v_fmamk_f64 v[50:51], v[18:19], 0x3f58d728ef7a4729, v[48:49]
	v_fmaak_f64 v[48:49], s[0:1], v[14:15], 0xbf3b7c31d6e11677
	s_mov_b64 s[0:1], 0x3ef5f8c88ad0a27f
	s_delay_alu instid0(SALU_CYCLE_1) | instskip(NEXT) | instid1(VALU_DEP_2)
	v_fmaak_f64 v[54:55], s[0:1], v[14:15], 0xbf468865dc6129e2
	v_fmaak_f64 v[48:49], v[14:15], v[48:49], 0x3f6fc2cc6dfe45c6
	s_delay_alu instid0(VALU_DEP_2) | instskip(NEXT) | instid1(VALU_DEP_2)
	v_fmaak_f64 v[14:15], v[14:15], v[54:55], 0x3f7b644970387862
	v_mul_f64_e32 v[48:49], v[48:49], v[52:53]
	s_delay_alu instid0(VALU_DEP_2) | instskip(NEXT) | instid1(VALU_DEP_2)
	v_mul_f64_e32 v[14:15], v[14:15], v[52:53]
	v_fmamk_f64 v[48:49], v[18:19], 0x3fa391fc74e7187a, v[48:49]
	s_delay_alu instid0(VALU_DEP_2) | instskip(NEXT) | instid1(VALU_DEP_1)
	v_fmamk_f64 v[54:55], v[18:19], 0x3fd15787acb87a1d, v[14:15]
	v_add_f64_e64 v[14:15], v[18:19], -v[54:55]
	s_delay_alu instid0(VALU_DEP_1) | instskip(NEXT) | instid1(VALU_DEP_1)
	v_add_f64_e64 v[14:15], v[14:15], -v[48:49]
	v_add_f64_e64 v[14:15], v[14:15], -v[50:51]
	s_delay_alu instid0(VALU_DEP_1)
	v_add_f64_e64 v[52:53], v[14:15], -v[34:35]
.LBB0_15:
	s_or_b32 exec_lo, exec_lo, s15
                                        ; implicit-def: $vgpr14_vgpr15
.LBB0_16:
	s_and_not1_saveexec_b32 s0, s14
	s_cbranch_execz .LBB0_18
; %bb.17:
	s_mov_b64 s[2:3], 0x3fe921fb54442d15
	s_delay_alu instid0(SALU_CYCLE_1) | instskip(NEXT) | instid1(VALU_DEP_1)
	v_div_scale_f64 v[0:1], null, v[14:15], v[14:15], s[2:3]
	v_rcp_f64_e32 v[2:3], v[0:1]
	v_nop
	s_delay_alu instid0(TRANS32_DEP_1) | instskip(NEXT) | instid1(VALU_DEP_1)
	v_fma_f64 v[4:5], -v[0:1], v[2:3], 1.0
	v_fmac_f64_e32 v[2:3], v[2:3], v[4:5]
	s_delay_alu instid0(VALU_DEP_1) | instskip(NEXT) | instid1(VALU_DEP_1)
	v_fma_f64 v[4:5], -v[0:1], v[2:3], 1.0
	v_fmac_f64_e32 v[2:3], v[2:3], v[4:5]
	v_div_scale_f64 v[4:5], vcc_lo, s[2:3], v[14:15], s[2:3]
	s_delay_alu instid0(VALU_DEP_1) | instskip(NEXT) | instid1(VALU_DEP_1)
	v_mul_f64_e32 v[6:7], v[4:5], v[2:3]
	v_fma_f64 v[0:1], -v[0:1], v[6:7], v[4:5]
	s_delay_alu instid0(VALU_DEP_1) | instskip(NEXT) | instid1(VALU_DEP_1)
	v_div_fmas_f64 v[0:1], v[0:1], v[2:3], v[6:7]
	v_div_fixup_f64 v[0:1], v[0:1], v[14:15], s[2:3]
	s_mov_b64 s[2:3], 0xbfe62e42fefa39ef
	s_delay_alu instid0(VALU_DEP_1) | instskip(SKIP_1) | instid1(VALU_DEP_1)
	v_cmp_gt_f64_e32 vcc_lo, 0x10000000, v[0:1]
	v_cndmask_b32_e64 v2, 0, 0x100, vcc_lo
	v_ldexp_f64 v[0:1], v[0:1], v2
	s_delay_alu instid0(VALU_DEP_1) | instskip(SKIP_1) | instid1(TRANS32_DEP_1)
	v_rsq_f64_e32 v[2:3], v[0:1]
	v_nop
	v_mul_f64_e32 v[4:5], v[0:1], v[2:3]
	v_mul_f64_e32 v[2:3], 0.5, v[2:3]
	s_delay_alu instid0(VALU_DEP_1) | instskip(NEXT) | instid1(VALU_DEP_1)
	v_fma_f64 v[6:7], -v[2:3], v[4:5], 0.5
	v_fmac_f64_e32 v[4:5], v[4:5], v[6:7]
	v_fmac_f64_e32 v[2:3], v[2:3], v[6:7]
	s_delay_alu instid0(VALU_DEP_2) | instskip(NEXT) | instid1(VALU_DEP_1)
	v_fma_f64 v[18:19], -v[4:5], v[4:5], v[0:1]
	v_fmac_f64_e32 v[4:5], v[18:19], v[2:3]
	s_delay_alu instid0(VALU_DEP_1) | instskip(NEXT) | instid1(VALU_DEP_1)
	v_fma_f64 v[6:7], -v[4:5], v[4:5], v[0:1]
	v_fmac_f64_e32 v[4:5], v[6:7], v[2:3]
	v_cndmask_b32_e64 v2, 0, 0xffffff80, vcc_lo
	v_cmp_class_f64_e64 vcc_lo, v[0:1], 0x260
	s_delay_alu instid0(VALU_DEP_2) | instskip(NEXT) | instid1(VALU_DEP_1)
	v_ldexp_f64 v[2:3], v[4:5], v2
	v_dual_cndmask_b32 v19, v3, v1 :: v_dual_cndmask_b32 v18, v2, v0
	v_mul_f64_e32 v[0:1], 0xbff71547652b82fe, v[14:15]
	s_delay_alu instid0(VALU_DEP_1) | instskip(NEXT) | instid1(VALU_DEP_1)
	v_rndne_f64_e32 v[0:1], v[0:1]
	v_fma_f64 v[2:3], v[0:1], s[2:3], -v[14:15]
	s_mov_b64 s[2:3], 0x3e5ade156a5dcb37
	s_delay_alu instid0(VALU_DEP_1) | instskip(SKIP_1) | instid1(VALU_DEP_2)
	v_fmamk_f64 v[2:3], v[0:1], 0xbc7abc9e3b39803f, v[2:3]
	v_cvt_i32_f64_e32 v0, v[0:1]
	v_fmaak_f64 v[4:5], s[2:3], v[2:3], 0x3e928af3fca7ab0c
	s_mov_b64 s[2:3], 0xbebd15ece2ece559
	s_delay_alu instid0(VALU_DEP_1) | instskip(NEXT) | instid1(VALU_DEP_1)
	v_fmaak_f64 v[4:5], v[2:3], v[4:5], 0x3ec71dee623fde64
	v_fmaak_f64 v[4:5], v[2:3], v[4:5], 0x3efa01997c89e6b0
	s_delay_alu instid0(VALU_DEP_1) | instskip(NEXT) | instid1(VALU_DEP_1)
	v_fmaak_f64 v[4:5], v[2:3], v[4:5], 0x3f2a01a014761f6e
	v_fmaak_f64 v[4:5], v[2:3], v[4:5], 0x3f56c16c1852b7b0
	;; [unrolled: 3-line block ×4, first 2 shown]
	s_delay_alu instid0(VALU_DEP_1) | instskip(NEXT) | instid1(VALU_DEP_1)
	v_fma_f64 v[4:5], v[2:3], v[4:5], 1.0
	v_fma_f64 v[2:3], v[2:3], v[4:5], 1.0
	s_delay_alu instid0(VALU_DEP_1) | instskip(SKIP_2) | instid1(VALU_DEP_1)
	v_ldexp_f64 v[52:53], v[2:3], v0
	v_fmaak_f64 v[0:1], s[2:3], v[14:15], 0x3f1f6fc8c95a68be
	s_mov_b64 s[2:3], 0x3fbe19cf34ee1a66
	v_fmaak_f64 v[0:1], v[14:15], v[0:1], 0xbf90538fb75c6a7d
	s_delay_alu instid0(VALU_DEP_1) | instskip(NEXT) | instid1(VALU_DEP_1)
	v_fmaak_f64 v[0:1], v[14:15], v[0:1], 0x3ff227a523a9e0cf
	v_fmaak_f64 v[0:1], v[14:15], v[0:1], 0xc0465c5ee6225023
	s_delay_alu instid0(VALU_DEP_1) | instskip(NEXT) | instid1(VALU_DEP_1)
	v_fmaak_f64 v[0:1], v[14:15], v[0:1], 0x40909a0c7546e5d8
	v_fmaak_f64 v[0:1], v[14:15], v[0:1], 0xc0cdb3b2247745c1
	s_delay_alu instid0(VALU_DEP_1) | instskip(NEXT) | instid1(VALU_DEP_1)
	v_fmaak_f64 v[0:1], v[14:15], v[0:1], 0x40fd756e319b9717
	v_fmaak_f64 v[2:3], v[14:15], v[0:1], 0xc118da4977a82cda
	v_add_f64_e32 v[0:1], 0xbfbe19cf34ee1a66, v[14:15]
	s_delay_alu instid0(VALU_DEP_1) | instskip(NEXT) | instid1(VALU_DEP_1)
	v_div_scale_f64 v[4:5], null, v[0:1], v[0:1], s[2:3]
	v_rcp_f64_e32 v[6:7], v[4:5]
	v_nop
	s_delay_alu instid0(TRANS32_DEP_1) | instskip(NEXT) | instid1(VALU_DEP_1)
	v_fma_f64 v[30:31], -v[4:5], v[6:7], 1.0
	v_fmac_f64_e32 v[6:7], v[6:7], v[30:31]
	s_delay_alu instid0(VALU_DEP_1) | instskip(NEXT) | instid1(VALU_DEP_1)
	v_fma_f64 v[30:31], -v[4:5], v[6:7], 1.0
	v_fmac_f64_e32 v[6:7], v[6:7], v[30:31]
	v_div_scale_f64 v[30:31], vcc_lo, s[2:3], v[0:1], s[2:3]
	s_delay_alu instid0(VALU_DEP_1) | instskip(NEXT) | instid1(VALU_DEP_1)
	v_mul_f64_e32 v[34:35], v[30:31], v[6:7]
	v_fma_f64 v[4:5], -v[4:5], v[34:35], v[30:31]
	s_delay_alu instid0(VALU_DEP_1) | instskip(NEXT) | instid1(VALU_DEP_1)
	v_div_fmas_f64 v[4:5], v[4:5], v[6:7], v[34:35]
	v_div_fixup_f64 v[0:1], v[4:5], v[0:1], s[2:3]
	s_mov_b64 s[2:3], 0xbef0c9b84b993860
	s_delay_alu instid0(VALU_DEP_1) | instskip(SKIP_2) | instid1(VALU_DEP_1)
	v_fmac_f64_e32 v[0:1], v[2:3], v[52:53]
	v_fmaak_f64 v[2:3], s[2:3], v[14:15], 0x3f5213a0e7ffdbf2
	s_mov_b64 s[2:3], 0x3ff13167efcf0c01
	v_fmaak_f64 v[2:3], v[14:15], v[2:3], 0xbfc334a177e55c8b
	s_delay_alu instid0(VALU_DEP_1) | instskip(NEXT) | instid1(VALU_DEP_1)
	v_fmaak_f64 v[2:3], v[14:15], v[2:3], 0x40251cdbc0e94c48
	v_fmaak_f64 v[2:3], v[14:15], v[2:3], 0xc079a7804647d599
	s_delay_alu instid0(VALU_DEP_1) | instskip(NEXT) | instid1(VALU_DEP_1)
	v_fmaak_f64 v[2:3], v[14:15], v[2:3], 0x40c2cd05a73371c0
	v_fmaak_f64 v[2:3], v[14:15], v[2:3], 0xc10096808f075ded
	s_delay_alu instid0(VALU_DEP_1) | instskip(NEXT) | instid1(VALU_DEP_1)
	v_fmaak_f64 v[2:3], v[14:15], v[2:3], 0x413030d3c537d8b4
	v_fmaak_f64 v[4:5], v[14:15], v[2:3], 0xc14acb31f6cdfc62
	v_add_f64_e32 v[2:3], 0xbff13167efcf0c01, v[14:15]
	s_delay_alu instid0(VALU_DEP_1) | instskip(NEXT) | instid1(VALU_DEP_1)
	v_div_scale_f64 v[6:7], null, v[2:3], v[2:3], s[2:3]
	v_rcp_f64_e32 v[30:31], v[6:7]
	v_nop
	s_delay_alu instid0(TRANS32_DEP_1) | instskip(NEXT) | instid1(VALU_DEP_1)
	v_fma_f64 v[34:35], -v[6:7], v[30:31], 1.0
	v_fmac_f64_e32 v[30:31], v[30:31], v[34:35]
	s_delay_alu instid0(VALU_DEP_1) | instskip(NEXT) | instid1(VALU_DEP_1)
	v_fma_f64 v[34:35], -v[6:7], v[30:31], 1.0
	v_fmac_f64_e32 v[30:31], v[30:31], v[34:35]
	v_div_scale_f64 v[34:35], vcc_lo, s[2:3], v[2:3], s[2:3]
	s_delay_alu instid0(VALU_DEP_1) | instskip(NEXT) | instid1(VALU_DEP_1)
	v_mul_f64_e32 v[48:49], v[34:35], v[30:31]
	v_fma_f64 v[6:7], -v[6:7], v[48:49], v[34:35]
	s_delay_alu instid0(VALU_DEP_1) | instskip(NEXT) | instid1(VALU_DEP_1)
	v_div_fmas_f64 v[6:7], v[6:7], v[30:31], v[48:49]
	v_div_fixup_f64 v[2:3], v[6:7], v[2:3], s[2:3]
	s_mov_b64 s[2:3], 0xbf0788c40bd76181
	s_delay_alu instid0(VALU_DEP_1) | instskip(SKIP_2) | instid1(VALU_DEP_1)
	v_fmac_f64_e32 v[2:3], v[4:5], v[52:53]
	;; [unrolled: 33-line block ×4, first 2 shown]
	v_fmaak_f64 v[30:31], s[2:3], v[14:15], 0xbf972382961d0a87
	s_mov_b64 s[2:3], 0x40279d47f0da34ed
	v_fmaak_f64 v[30:31], v[14:15], v[30:31], 0x3ff203e2cad9abcf
	s_delay_alu instid0(VALU_DEP_1) | instskip(NEXT) | instid1(VALU_DEP_1)
	v_fmaak_f64 v[30:31], v[14:15], v[30:31], 0xc046d66e77c3303d
	v_fmaak_f64 v[30:31], v[14:15], v[30:31], 0x4090882e5ad09d9e
	s_delay_alu instid0(VALU_DEP_1) | instskip(NEXT) | instid1(VALU_DEP_1)
	v_fmaak_f64 v[30:31], v[14:15], v[30:31], 0xc0c6a828f477f1a9
	;; [unrolled: 3-line block ×3, first 2 shown]
	v_fmaak_f64 v[34:35], v[14:15], v[30:31], 0xc16ebeebb01ab771
	v_add_f64_e32 v[30:31], 0xc0279d47f0da34ed, v[14:15]
	s_delay_alu instid0(VALU_DEP_1) | instskip(NEXT) | instid1(VALU_DEP_1)
	v_div_scale_f64 v[48:49], null, v[30:31], v[30:31], s[2:3]
	v_rcp_f64_e32 v[50:51], v[48:49]
	v_nop
	s_delay_alu instid0(TRANS32_DEP_1) | instskip(NEXT) | instid1(VALU_DEP_1)
	v_fma_f64 v[54:55], -v[48:49], v[50:51], 1.0
	v_fmac_f64_e32 v[50:51], v[50:51], v[54:55]
	s_delay_alu instid0(VALU_DEP_1) | instskip(NEXT) | instid1(VALU_DEP_1)
	v_fma_f64 v[54:55], -v[48:49], v[50:51], 1.0
	v_fmac_f64_e32 v[50:51], v[50:51], v[54:55]
	v_div_scale_f64 v[54:55], vcc_lo, s[2:3], v[30:31], s[2:3]
	s_delay_alu instid0(VALU_DEP_1) | instskip(NEXT) | instid1(VALU_DEP_1)
	v_mul_f64_e32 v[98:99], v[54:55], v[50:51]
	v_fma_f64 v[48:49], -v[48:49], v[98:99], v[54:55]
	s_delay_alu instid0(VALU_DEP_1) | instskip(NEXT) | instid1(VALU_DEP_1)
	v_div_fmas_f64 v[48:49], v[48:49], v[50:51], v[98:99]
	v_div_fixup_f64 v[30:31], v[48:49], v[30:31], s[2:3]
	s_mov_b64 s[2:3], 0xbdffafc5de79be1e
	s_delay_alu instid0(VALU_DEP_1) | instskip(SKIP_2) | instid1(SALU_CYCLE_1)
	v_fmac_f64_e32 v[30:31], v[34:35], v[52:53]
	v_fmaak_f64 v[34:35], s[2:3], v[14:15], 0x3e8333d86fac200f
	s_mov_b64 s[2:3], 0xbe59db0b63c0feb6
	v_fmaak_f64 v[48:49], s[2:3], v[14:15], 0x3ee10abab73411fd
	s_mov_b64 s[2:3], 0x3ef33fca1d2c6bed
	s_delay_alu instid0(VALU_DEP_2) | instskip(NEXT) | instid1(VALU_DEP_2)
	v_fmaak_f64 v[34:35], v[14:15], v[34:35], 0xbef1314ad4d3dfad
	v_fmaak_f64 v[48:49], v[14:15], v[48:49], 0xbf4da36c8ebd8bfc
	s_delay_alu instid0(VALU_DEP_2) | instskip(NEXT) | instid1(VALU_DEP_2)
	v_fmaak_f64 v[34:35], v[14:15], v[34:35], 0x3f52f8a20e39df11
	v_fmaak_f64 v[48:49], v[14:15], v[48:49], 0x3fb0532434e75a00
	;; [unrolled: 3-line block ×8, first 2 shown]
	s_delay_alu instid0(VALU_DEP_2) | instskip(NEXT) | instid1(VALU_DEP_2)
	v_mul_f64_e32 v[34:35], v[52:53], v[34:35]
	v_mul_f64_e32 v[48:49], v[52:53], v[48:49]
	s_delay_alu instid0(VALU_DEP_2) | instskip(NEXT) | instid1(VALU_DEP_2)
	v_fmamk_f64 v[34:35], v[18:19], 0x3ee214872c35b4c1, v[34:35]
	v_fmamk_f64 v[50:51], v[18:19], 0x3f58d728ef7a4729, v[48:49]
	v_fmaak_f64 v[48:49], s[2:3], v[14:15], 0xbf595e6009b04194
	s_mov_b64 s[2:3], 0x3efd208e41f77718
	s_delay_alu instid0(SALU_CYCLE_1) | instskip(NEXT) | instid1(VALU_DEP_2)
	v_fmaak_f64 v[54:55], s[2:3], v[14:15], 0xbf624130643c4348
	v_fmaak_f64 v[48:49], v[14:15], v[48:49], 0x3fbe575b40992d0d
	s_delay_alu instid0(VALU_DEP_2) | instskip(NEXT) | instid1(VALU_DEP_2)
	v_fmaak_f64 v[54:55], v[14:15], v[54:55], 0x3fc49e311ff2843f
	v_fmaak_f64 v[48:49], v[14:15], v[48:49], 0xc01ac9373f3b9825
	s_delay_alu instid0(VALU_DEP_2) | instskip(NEXT) | instid1(VALU_DEP_2)
	;; [unrolled: 3-line block ×7, first 2 shown]
	v_fmaak_f64 v[14:15], v[14:15], v[54:55], 0x4147b32923834483
	v_mul_f64_e32 v[48:49], v[48:49], v[52:53]
	s_delay_alu instid0(VALU_DEP_2) | instskip(NEXT) | instid1(VALU_DEP_2)
	v_mul_f64_e32 v[14:15], v[14:15], v[52:53]
	v_fmamk_f64 v[48:49], v[18:19], 0x3fa391fc74e7187a, v[48:49]
	s_delay_alu instid0(VALU_DEP_2) | instskip(SKIP_1) | instid1(VALU_DEP_1)
	v_fmamk_f64 v[54:55], v[18:19], 0x3fd15787acb87a1d, v[14:15]
	v_fmamk_f64 v[14:15], v[52:53], 0xbf941743e963dc48, v[18:19]
	v_add_f64_e64 v[14:15], v[14:15], -v[54:55]
	s_delay_alu instid0(VALU_DEP_1) | instskip(NEXT) | instid1(VALU_DEP_1)
	v_add_f64_e64 v[14:15], v[14:15], -v[48:49]
	v_add_f64_e64 v[14:15], v[14:15], -v[50:51]
	s_delay_alu instid0(VALU_DEP_1)
	v_add_f64_e64 v[52:53], v[14:15], -v[34:35]
.LBB0_18:
	s_or_b32 exec_lo, exec_lo, s0
                                        ; implicit-def: $vgpr14_vgpr15
.LBB0_19:
	s_and_not1_saveexec_b32 s2, s13
	s_cbranch_execz .LBB0_21
; %bb.20:
	v_add_f64_e32 v[14:15], 0xc0368000, v[14:15]
	s_mov_b64 s[40:41], 0xbbbaa199d7ebac3b
	s_mov_b64 s[28:29], 0xbc43cc44a9a19d69
	;; [unrolled: 1-line block ×10, first 2 shown]
	s_delay_alu instid0(VALU_DEP_1)
	v_fmaak_f64 v[52:53], s[40:41], v[14:15], 0x3bf46dfbb494a3dd
	v_fmaak_f64 v[50:51], s[28:29], v[14:15], 0xbc46a550acf105c4
	v_fmaak_f64 v[2:3], s[14:15], v[14:15], 0xbd0b89e6b86de6a5
	v_fmaak_f64 v[4:5], s[16:17], v[14:15], 0xbd2b8d4667ef8a26
	v_fmaak_f64 v[6:7], s[18:19], v[14:15], 0xbd45ef1c2ea6ebd2
	v_fmaak_f64 v[18:19], s[20:21], v[14:15], 0x3d725fe59c02fb10
	v_fmaak_f64 v[0:1], s[0:1], v[14:15], 0x3d00a65fe7d2b0fe
	v_fmaak_f64 v[52:53], v[14:15], v[52:53], 0xbc3d4619f30aba64
	v_fmaak_f64 v[50:51], v[14:15], v[50:51], 0x3cc6126f0d6a677e
	v_fmaak_f64 v[30:31], s[22:23], v[14:15], 0x3d3c45633167b143
	v_fmaak_f64 v[34:35], s[24:25], v[14:15], 0xbd321c5c862daea3
	v_fmaak_f64 v[48:49], s[26:27], v[14:15], 0xbd2cd0333d4a79ba
	v_fmaak_f64 v[2:3], v[14:15], v[2:3], 0x3d316816a96dd3cb
	v_fmaak_f64 v[4:5], v[14:15], v[4:5], 0x3d3ffd1adcde2a65
	v_fmaak_f64 v[52:53], v[14:15], v[52:53], 0x3c835b006e6a47a8
	v_fmaak_f64 v[6:7], v[14:15], v[6:7], 0xbd6a77db6bb399b6
	v_fmaak_f64 v[18:19], v[14:15], v[18:19], 0xbd5e2a158bd3c013
	v_fmaak_f64 v[50:51], v[14:15], v[50:51], 0xbd033347aed5533c
	v_fmaak_f64 v[0:1], v[14:15], v[0:1], 0x3d4459b3d81a9f5b
	v_fmaak_f64 v[30:31], v[14:15], v[30:31], 0x3d6b813e02467f89
	v_fmaak_f64 v[34:35], v[14:15], v[34:35], 0xbd50991e4b9335f4
	v_fmaak_f64 v[52:53], v[14:15], v[52:53], 0xbcc154b4719e141e
	v_fmaak_f64 v[48:49], v[14:15], v[48:49], 0xbd2767b925e98841
	v_fmaak_f64 v[2:3], v[14:15], v[2:3], 0x3d7d063f9d44d214
	v_fmaak_f64 v[4:5], v[14:15], v[4:5], 0x3da09822978c36f2
	v_fmaak_f64 v[6:7], v[14:15], v[6:7], 0x3dc1a4ffbc17fdfa
	v_fmaak_f64 v[18:19], v[14:15], v[18:19], 0xbdf2166130d50373
	v_fmaak_f64 v[50:51], v[14:15], v[50:51], 0x3d2b2bea67a2f4b7
	v_fmaak_f64 v[52:53], v[14:15], v[52:53], 0x3cf841fee6b400c6
	v_fmaak_f64 v[0:1], v[14:15], v[0:1], 0xbd878b665dcfbb4c
	v_fmaak_f64 v[30:31], v[14:15], v[30:31], 0xbdbc02e94c62311d
	v_fmaak_f64 v[34:35], v[14:15], v[34:35], 0x3da22ab6a4c657e5
	v_fmaak_f64 v[48:49], v[14:15], v[48:49], 0x3d92894c27b86fcc
	v_fmaak_f64 v[2:3], v[14:15], v[2:3], 0xbdbe03762a0c837e
	v_fmaak_f64 v[4:5], v[14:15], v[4:5], 0xbdda7c7bcec28078
	v_fmaak_f64 v[6:7], v[14:15], v[6:7], 0xbdec86d927cd4e4e
	v_fmaak_f64 v[18:19], v[14:15], v[18:19], 0x3e34a29fdeae550f
	v_fmaak_f64 v[50:51], v[14:15], v[50:51], 0xbd57e4dd30627499
	v_fmaak_f64 v[52:53], v[14:15], v[52:53], 0xbd3138687cfbbab2
	v_fmaak_f64 v[0:1], v[14:15], v[0:1], 0x3d999cb3d441c9e5
	v_fmaak_f64 v[30:31], v[14:15], v[30:31], 0x3de454e65b6bc27e
	v_fmaak_f64 v[34:35], v[14:15], v[34:35], 0x3dd95ec916143f9e
	v_fmaak_f64 v[48:49], v[14:15], v[48:49], 0x3dd26ea26634dbdc
	v_fmaak_f64 v[2:3], v[14:15], v[2:3], 0x3dc4653d4f2881d6
	v_fmaak_f64 v[4:5], v[14:15], v[4:5], 0xbdd6cdc448a6d24d
	v_fmaak_f64 v[6:7], v[14:15], v[6:7], 0xbe21c93e9a7273af
	v_fmaak_f64 v[18:19], v[14:15], v[18:19], 0xbe53b5de12101224
	v_fmaak_f64 v[50:51], v[14:15], v[50:51], 0x3db25e9fe10e5e5a
	v_fmaak_f64 v[52:53], v[14:15], v[52:53], 0x3d6db3b472dcc640
	v_fmaak_f64 v[0:1], v[14:15], v[0:1], 0x3deddc52a8b1c9c5
	v_fmaak_f64 v[2:3], v[14:15], v[2:3], 0x3e230a1ada515699
	v_fmaak_f64 v[4:5], v[14:15], v[4:5], 0x3e402deb9800dbc7
	v_fmaak_f64 v[30:31], v[14:15], v[30:31], 0x3e1a2ad7824ee3e8
	v_fmaak_f64 v[34:35], v[14:15], v[34:35], 0xbe38666c9a0e00f9
	v_fmaak_f64 v[48:49], v[14:15], v[48:49], 0xbe2cde9e4c510ac2
	v_fmaak_f64 v[6:7], v[14:15], v[6:7], 0x3e3f73c67ba9b9cb
	v_fmaak_f64 v[18:19], v[14:15], v[18:19], 0xbeb1ebc743660cd8
	v_fmaak_f64 v[50:51], v[14:15], v[50:51], 0xbdfe6b915c6f499e
	v_fmaak_f64 v[52:53], v[14:15], v[52:53], 0xbdaa1082b0e73ddd
	v_fmaak_f64 v[0:1], v[14:15], v[0:1], 0x3e2e99d8fe90cb38
	v_fmaak_f64 v[2:3], v[14:15], v[2:3], 0x3e68c866fe69745d
	v_fmaak_f64 v[4:5], v[14:15], v[4:5], 0x3e921e83a6a2d506
	v_fmaak_f64 v[30:31], v[14:15], v[30:31], 0x3e43c226480ce143
	v_fmaak_f64 v[34:35], v[14:15], v[34:35], 0x3e80704eec70f4a3
	v_fmaak_f64 v[48:49], v[14:15], v[48:49], 0x3e704e63bba83240
	v_fmaak_f64 v[6:7], v[14:15], v[6:7], 0x3ebf10187d089a1b
	v_fmaak_f64 v[18:19], v[14:15], v[18:19], 0x3f0142c352d5c9a1
	v_fmaak_f64 v[50:51], v[14:15], v[50:51], 0x3e3d17bd93de7c00
	v_fmaak_f64 v[52:53], v[14:15], v[52:53], 0x3de2bb8511e2969a
	v_fmaak_f64 v[0:1], v[14:15], v[0:1], 0xbe94629f0ba558a3
	v_fmaak_f64 v[2:3], v[14:15], v[2:3], 0xbecbe1cfdcffb936
	v_fmaak_f64 v[4:5], v[14:15], v[4:5], 0xbeedfc4e3cec1f38
	v_fmaak_f64 v[6:7], v[14:15], v[6:7], 0xbf10b65b454c7bdd
	v_fmaak_f64 v[18:19], v[14:15], v[18:19], 0xbf437d96c7730a83
	v_fmaak_f64 v[30:31], v[14:15], v[30:31], 0xbec268294d1ab228
	v_fmaak_f64 v[34:35], v[14:15], v[34:35], 0xbec1c6f08f11dfa7
	v_fmaak_f64 v[48:49], v[14:15], v[48:49], 0xbea8dae02780ce62
	v_fmaak_f64 v[50:51], v[14:15], v[50:51], 0xbe72e28f3b36af62
	v_fmaak_f64 v[52:53], v[14:15], v[52:53], 0xbe143ec5d9394090
	v_fmaak_f64 v[0:1], v[14:15], v[0:1], 0x3ee3db6941de8b82
	v_fmaak_f64 v[2:3], v[14:15], v[2:3], 0x3f19cfc62c973c21
	v_fmaak_f64 v[4:5], v[14:15], v[4:5], 0x3f38caab3e8b9546
	v_fmaak_f64 v[6:7], v[14:15], v[6:7], 0x3f56699e1ec3588e
	v_fmaak_f64 v[18:19], v[14:15], v[18:19], 0x3f80fc59e734c97f
	v_fmaak_f64 v[30:31], v[14:15], v[30:31], 0x3f16b24543d4f302
	v_fmaak_f64 v[34:35], v[14:15], v[34:35], 0x3f063587cef0727c
	v_fmaak_f64 v[48:49], v[14:15], v[48:49], 0x3ee28ae2c0873820
	v_fmaak_f64 v[50:51], v[14:15], v[50:51], 0x3ea44cda531399e0
	v_fmaak_f64 v[52:53], v[14:15], v[52:53], 0x3e40c2767be0e600
	v_fmaak_f64 v[0:1], v[14:15], v[0:1], 0xbf2e439c035ac9f1
	v_fmaak_f64 v[2:3], v[14:15], v[2:3], 0xbf62d961a705b7a0
	v_fmaak_f64 v[4:5], v[14:15], v[4:5], 0xbf8072bae2bae2a0
	v_fmaak_f64 v[6:7], v[14:15], v[6:7], 0xbf98c9399dc21986
	v_fmaak_f64 v[18:19], v[14:15], v[18:19], 0xbfb96c8715ba9822
	v_fmaak_f64 v[54:55], v[14:15], v[30:31], 0xbf67290a1565e33a
	v_fmaak_f64 v[34:35], v[14:15], v[34:35], 0xbf52bf4461811cb3
	v_fmaak_f64 v[48:49], v[14:15], v[48:49], 0xbf269e20e2d54a21
	v_fmaak_f64 v[50:51], v[14:15], v[50:51], 0xbee05e92c0badfe0
	v_fmaak_f64 v[98:99], v[14:15], v[52:53], 0xbe700bd38fd3701f
	v_fmaak_f64 v[0:1], v[14:15], v[0:1], 0x3f757d7ff7a311a2
	v_fmaak_f64 v[2:3], v[14:15], v[2:3], 0x3fa9a4ad90ddaafb
	v_fmaak_f64 v[4:5], v[14:15], v[4:5], 0x3fc44fefc129d400
	v_fmaak_f64 v[6:7], v[14:15], v[6:7], 0x3fd97653f75de41c
	v_fmaak_f64 v[30:31], v[14:15], v[18:19], 0x3ff193c693255247
	v_fmaak_f64 v[52:53], v[14:15], v[54:55], 0x3fc079d772e00ab9
	v_fmaak_f64 v[54:55], v[14:15], v[34:35], 0x3fa9f033dc9daee7
	v_fmaak_f64 v[48:49], v[14:15], v[48:49], 0x3f7d5a835a6fd842
	v_fmaak_f64 v[50:51], v[14:15], v[50:51], 0x3f32bd868ae17282
	v_fmaak_f64 v[34:35], v[14:15], v[98:99], 0x3ebbb6b0e24002e5
.LBB0_21:
	s_or_b32 exec_lo, exec_lo, s2
                                        ; implicit-def: $vgpr14_vgpr15
.LBB0_22:
	s_and_not1_saveexec_b32 s2, s12
	s_cbranch_execz .LBB0_24
; %bb.23:
	v_add_f64_e32 v[14:15], 0xc0318000, v[14:15]
	s_mov_b64 s[28:29], 0x3bdfce7c87adc0a8
	s_mov_b64 s[16:17], 0xbcea56376c1b8af4
	;; [unrolled: 1-line block ×10, first 2 shown]
	s_delay_alu instid0(VALU_DEP_1)
	v_fmaak_f64 v[52:53], s[28:29], v[14:15], 0xbc1f58f5f57d67dc
	v_fmaak_f64 v[6:7], s[16:17], v[14:15], 0x3d15dc0ddac67185
	;; [unrolled: 1-line block ×116, first 2 shown]
.LBB0_24:
	s_or_b32 exec_lo, exec_lo, s2
                                        ; implicit-def: $vgpr14_vgpr15
.LBB0_25:
	s_and_not1_saveexec_b32 s2, s11
	s_cbranch_execz .LBB0_27
; %bb.26:
	v_add_f64_e32 v[14:15], 0xc0290000, v[14:15]
	s_mov_b64 s[28:29], 0xbc030b2169491c8c
	s_mov_b64 s[26:27], 0x3c472a6e667a3f1f
	;; [unrolled: 1-line block ×10, first 2 shown]
	s_delay_alu instid0(VALU_DEP_1)
	v_fmaak_f64 v[52:53], s[28:29], v[14:15], 0x3c43f1b41597301d
	v_fmaak_f64 v[50:51], s[26:27], v[14:15], 0xbc88e31e324f96b8
	;; [unrolled: 1-line block ×118, first 2 shown]
.LBB0_27:
	s_or_b32 exec_lo, exec_lo, s2
                                        ; implicit-def: $vgpr14_vgpr15
.LBB0_28:
	s_and_not1_saveexec_b32 s2, s10
	s_cbranch_execz .LBB0_30
; %bb.29:
	v_add_f64_e32 v[14:15], 0xc01e0000, v[14:15]
	s_mov_b64 s[26:27], 0x3c2ae52e8adfe63c
	s_mov_b64 s[24:25], 0xbc6914545a8dc915
	;; [unrolled: 1-line block ×10, first 2 shown]
	s_delay_alu instid0(VALU_DEP_1)
	v_fmaak_f64 v[52:53], s[26:27], v[14:15], 0xbc6d2c502b78eec9
	v_fmaak_f64 v[50:51], s[24:25], v[14:15], 0x3caab45c2a6491ab
	;; [unrolled: 1-line block ×117, first 2 shown]
.LBB0_30:
	s_or_b32 exec_lo, exec_lo, s2
                                        ; implicit-def: $vgpr14_vgpr15
.LBB0_31:
	s_and_not1_saveexec_b32 s2, s9
	s_cbranch_execz .LBB0_33
; %bb.32:
	v_add_f64_e32 v[14:15], 0xc0080000, v[14:15]
	s_mov_b64 s[26:27], 0xbccd6d609c3330dc
	s_mov_b64 s[24:25], 0x3d076f5ca978abcf
	;; [unrolled: 1-line block ×10, first 2 shown]
	s_delay_alu instid0(VALU_DEP_1)
	v_fmaak_f64 v[52:53], s[26:27], v[14:15], 0x3d0d95572909fdcd
	v_fmaak_f64 v[50:51], s[24:25], v[14:15], 0xbd46a1b86bd48d15
	;; [unrolled: 1-line block ×112, first 2 shown]
.LBB0_33:
	s_or_b32 exec_lo, exec_lo, s2
                                        ; implicit-def: $vgpr14_vgpr15
.LBB0_34:
	s_and_not1_saveexec_b32 s0, s8
	s_cbranch_execz .LBB0_36
; %bb.35:
	s_mov_b64 s[10:11], 0x3e31978ae73504c5
	s_mov_b64 s[12:13], 0xbe443a7147f4f67f
	v_fmaak_f64 v[6:7], s[10:11], v[14:15], 0xbe715ed29e8a7b7e
	s_mov_b64 s[10:11], 0xbe64aadf46fe9666
	v_fmaak_f64 v[18:19], s[12:13], v[14:15], 0x3e83ca6bb77b59f1
	v_fmaak_f64 v[30:31], s[10:11], v[14:15], 0x3ea303047417eba1
	s_mov_b64 s[8:9], 0x3dea8ab6494a8781
	s_mov_b64 s[2:3], 0xbdc88e734c4b2782
	v_fmaak_f64 v[2:3], s[8:9], v[14:15], 0xbe33a3b5d76cbac1
	v_fmaak_f64 v[6:7], v[14:15], v[6:7], 0x3ea6a0a8745b8191
	s_mov_b64 s[8:9], 0x3e42878ec528cf1f
	v_fmaak_f64 v[18:19], v[14:15], v[18:19], 0xbeba6ab9ed4ebe4d
	v_fmaak_f64 v[34:35], s[8:9], v[14:15], 0xbe82a729e02f210d
	;; [unrolled: 1-line block ×4, first 2 shown]
	s_mov_b64 s[2:3], 0x3e34d484dc0b9945
	v_fmaak_f64 v[6:7], v[14:15], v[6:7], 0xbed8d265c8379b4f
	v_fmaak_f64 v[4:5], s[2:3], v[14:15], 0x3e81a7a458e0483e
	s_mov_b64 s[2:3], 0xbe21821b6a8f6b14
	v_fmaak_f64 v[34:35], v[14:15], v[34:35], 0x3ebae460aa862d0d
	v_fmaak_f64 v[48:49], s[2:3], v[14:15], 0x3e64e3e3e8962c67
	;; [unrolled: 1-line block ×5, first 2 shown]
	s_mov_b64 s[8:9], 0xbe432a32993fd021
	v_fmaak_f64 v[0:1], v[14:15], v[0:1], 0xbe5c3c9a3589962d
	v_fmaak_f64 v[2:3], v[14:15], v[2:3], 0x3e5aaa50bf3f1436
	v_fmaak_f64 v[50:51], s[8:9], v[14:15], 0x3e530947b8461e0b
	v_fmaak_f64 v[48:49], v[14:15], v[48:49], 0xbea3a061389b40bf
	v_fmaak_f64 v[34:35], v[14:15], v[34:35], 0xbef1436ceec59c68
	v_fmaak_f64 v[18:19], v[14:15], v[18:19], 0xbf1f287b38fc636d
	v_fmaak_f64 v[30:31], v[14:15], v[30:31], 0xbf35235eb66a3908
	v_fmaak_f64 v[6:7], v[14:15], v[6:7], 0xbf339a1cfcd1fde6
	s_mov_b64 s[2:3], 0xbe90ae9a322de142
	v_fmaak_f64 v[4:5], v[14:15], v[4:5], 0xbec7358f0426d062
	v_fmaak_f64 v[0:1], v[14:15], v[0:1], 0x3ea148ba806de6de
	;; [unrolled: 1-line block ×50, first 2 shown]
.LBB0_36:
	s_or_b32 exec_lo, exec_lo, s0
                                        ; implicit-def: $vgpr14_vgpr15
.LBB0_37:
	s_and_not1_saveexec_b32 s0, s7
	s_cbranch_execz .LBB0_39
; %bb.38:
	s_mov_b64 s[2:3], 0xbf61af0997367277
	s_mov_b64 s[8:9], 0xbf968df37ab464a1
	v_fmaak_f64 v[0:1], s[2:3], v[14:15], 0x3f9735bc96777b17
	v_fmaak_f64 v[2:3], s[8:9], v[14:15], 0x3fcd9a4f911e2d57
	s_mov_b64 s[2:3], 0xbfb4e725478ad91d
	s_mov_b64 s[8:9], 0xbfd21fd715450605
	v_fmaak_f64 v[4:5], s[2:3], v[14:15], 0x3feb6f60edde45dc
	v_fmaak_f64 v[6:7], s[8:9], v[14:15], 0x4007c9ca4be77340
	;; [unrolled: 4-line block ×5, first 2 shown]
.LBB0_39:
	s_or_b32 exec_lo, exec_lo, s0
	s_clause 0x5
	scratch_store_b128 off, v[0:3], s33 offset:192
	scratch_store_b128 off, v[4:7], s33 offset:208
	;; [unrolled: 1-line block ×4, first 2 shown]
	scratch_store_b64 off, v[30:31], s33 offset:224
	scratch_store_b64 off, v[34:35], s33 offset:288
.LBB0_40:
	s_wait_xcnt 0x0
	s_or_b32 exec_lo, exec_lo, s6
                                        ; implicit-def: $vgpr14_vgpr15
.LBB0_41:
	s_and_not1_saveexec_b32 s5, s5
	s_cbranch_execz .LBB0_81
; %bb.42:
	scratch_load_b32 v0, off, s33 offset:744 ; 4-byte Folded Reload
	s_mov_b32 s6, exec_lo
	s_wait_loadcnt 0x0
	v_cmpx_eq_u32_e32 3, v0
	s_cbranch_execz .LBB0_80
; %bb.43:
	s_mov_b64 s[0:1], 0x3e9421f5f40d8376
                                        ; implicit-def: $vgpr50_vgpr51
                                        ; implicit-def: $vgpr54_vgpr55
                                        ; implicit-def: $vgpr6_vgpr7
                                        ; implicit-def: $vgpr2_vgpr3
	s_delay_alu instid0(SALU_CYCLE_1) | instskip(SKIP_1) | instid1(SALU_CYCLE_1)
	v_cmp_ge_f64_e32 vcc_lo, s[0:1], v[14:15]
	s_and_saveexec_b32 s0, vcc_lo
	s_xor_b32 s0, exec_lo, s0
	s_cbranch_execz .LBB0_45
; %bb.44:
	s_mov_b64 s[2:3], 0xbf70c772b50b683f
	s_mov_b64 s[8:9], 0xbfa6fbdb14031eb8
	v_fmaak_f64 v[0:1], s[2:3], v[14:15], 0x3fa1d3e9e05c2661
	v_fmaak_f64 v[2:3], s[8:9], v[14:15], 0x3fd86b98c54950d9
	s_mov_b64 s[2:3], 0xbfca296bf5c7ac84
	s_mov_b64 s[8:9], 0xbff64c86904d2a98
	v_fmaak_f64 v[4:5], s[2:3], v[14:15], 0x3ffbcc02b516dd81
	v_fmaak_f64 v[6:7], s[8:9], v[14:15], 0x4027b14ef9527da2
	;; [unrolled: 4-line block ×4, first 2 shown]
                                        ; implicit-def: $vgpr14_vgpr15
.LBB0_45:
	s_and_not1_saveexec_b32 s7, s0
	s_cbranch_execz .LBB0_79
; %bb.46:
	s_mov_b32 s0, exec_lo
                                        ; implicit-def: $vgpr50_vgpr51
                                        ; implicit-def: $vgpr54_vgpr55
                                        ; implicit-def: $vgpr6_vgpr7
                                        ; implicit-def: $vgpr2_vgpr3
	v_cmpx_ge_f64_e32 1.0, v[14:15]
	s_xor_b32 s0, exec_lo, s0
	s_cbranch_execz .LBB0_48
; %bb.47:
	s_mov_b64 s[10:11], 0x3e3575d36b3dbd1d
	s_mov_b64 s[14:15], 0xbe6258214f804dda
	v_fmaak_f64 v[2:3], s[10:11], v[14:15], 0xbe75545a68d3e601
	s_mov_b64 s[10:11], 0xbe31aeea22c493a0
	v_fmaak_f64 v[6:7], s[14:15], v[14:15], 0x3ea105264518e97f
	v_fmaak_f64 v[4:5], s[10:11], v[14:15], 0x3e7194dff147f33e
	s_mov_b64 s[2:3], 0xbdead7d89d85fffc
	s_mov_b64 s[8:9], 0x3e1e74e161bd7af1
	;; [unrolled: 1-line block ×3, first 2 shown]
	v_fmaak_f64 v[2:3], v[14:15], v[2:3], 0x3eac0c63765b434a
	v_fmaak_f64 v[0:1], s[2:3], v[14:15], 0x3e3652e276bd8a7f
	;; [unrolled: 1-line block ×6, first 2 shown]
	s_mov_b64 s[2:3], 0xbe545a71e5438f94
	v_fmaak_f64 v[2:3], v[14:15], v[2:3], 0xbedf21b5502c7011
	s_mov_b64 s[12:13], 0xbe6e20ebd8589085
	v_fmaak_f64 v[6:7], v[14:15], v[6:7], 0x3f060a05b75b6a64
	v_fmaak_f64 v[4:5], v[14:15], v[4:5], 0x3edd1966f8c220a0
	;; [unrolled: 1-line block ×51, first 2 shown]
                                        ; implicit-def: $vgpr14_vgpr15
.LBB0_48:
	s_and_not1_saveexec_b32 s8, s0
	s_cbranch_execz .LBB0_78
; %bb.49:
	s_mov_b32 s0, exec_lo
                                        ; implicit-def: $vgpr50_vgpr51
                                        ; implicit-def: $vgpr54_vgpr55
                                        ; implicit-def: $vgpr6_vgpr7
                                        ; implicit-def: $vgpr2_vgpr3
	v_cmpx_ge_f64_e32 0x40140000, v[14:15]
	s_xor_b32 s0, exec_lo, s0
	s_cbranch_execz .LBB0_51
; %bb.50:
	v_add_f64_e32 v[14:15], 0xc0080000, v[14:15]
	s_mov_b64 s[14:15], 0xbcd18fa2af46b5bf
	s_mov_b64 s[2:3], 0xbcdac39c73ef1aa8
	;; [unrolled: 1-line block ×5, first 2 shown]
	s_delay_alu instid0(VALU_DEP_1)
	v_fmaak_f64 v[2:3], s[14:15], v[14:15], 0x3d11c5ebcdf599fb
	v_fmaak_f64 v[0:1], s[2:3], v[14:15], 0xbd42c1ab16f3fad2
	s_mov_b64 s[2:3], 0x3d046b6a7c85c3be
	v_fmaak_f64 v[48:49], s[16:17], v[14:15], 0x3d6ab17cc77df6e1
	v_fmaak_f64 v[4:5], s[2:3], v[14:15], 0xbd43c788e80b5ba2
	s_mov_b64 s[2:3], 0xbd107a1c0b929d25
	s_mov_b64 s[14:15], 0xbd7316df64d1b2d2
	v_fmaak_f64 v[2:3], v[14:15], v[2:3], 0xbd4faa74f8b17c62
	v_fmaak_f64 v[6:7], s[2:3], v[14:15], 0x3d4fc1b07464b23a
	v_fmaak_f64 v[18:19], s[10:11], v[14:15], 0xbd843604e497324a
	v_fmaak_f64 v[30:31], s[12:13], v[14:15], 0x3da7a18ff0371c25
	v_fmaak_f64 v[4:5], v[14:15], v[4:5], 0x3d80e1cfd63d76dd
	v_fmaak_f64 v[34:35], s[14:15], v[14:15], 0x3dd1a219f7f20262
	v_fmaak_f64 v[48:49], v[14:15], v[48:49], 0xbdaa16c4a56bea5f
	v_fmaak_f64 v[2:3], v[14:15], v[2:3], 0x3d8be9e93d18a4de
	v_fmaak_f64 v[6:7], v[14:15], v[6:7], 0xbd8b6930d4be3196
	v_fmaak_f64 v[0:1], v[14:15], v[0:1], 0x3d91e4c5e14cfada
	v_fmaak_f64 v[18:19], v[14:15], v[18:19], 0xbd90cea06b5bd8d9
	v_fmaak_f64 v[4:5], v[14:15], v[4:5], 0xbdbca4ce228c4445
	v_fmaak_f64 v[30:31], v[14:15], v[30:31], 0xbde45f4d3a3593bb
	v_fmaak_f64 v[34:35], v[14:15], v[34:35], 0x3e09ea5aa98f2b0e
	v_fmaak_f64 v[2:3], v[14:15], v[2:3], 0xbdc6e04fb203580f
	v_fmaak_f64 v[6:7], v[14:15], v[6:7], 0x3dc7c28bbbb72df0
	v_fmaak_f64 v[48:49], v[14:15], v[48:49], 0x3de99881fb571d3b
	v_fmaak_f64 v[0:1], v[14:15], v[0:1], 0xbdd93000e87f0a1f
	v_fmaak_f64 v[4:5], v[14:15], v[4:5], 0x3df6acde64396fcc
	v_fmaak_f64 v[18:19], v[14:15], v[18:19], 0x3e07846b5130e4c4
	v_fmaak_f64 v[30:31], v[14:15], v[30:31], 0xbe227fc8f29a7cc2
	v_fmaak_f64 v[2:3], v[14:15], v[2:3], 0x3e0140d20ca07101
	v_fmaak_f64 v[6:7], v[14:15], v[6:7], 0xbe037e42d8d5acb0
	v_fmaak_f64 v[34:35], v[14:15], v[34:35], 0xbe2302af34923fc0
	v_fmaak_f64 v[48:49], v[14:15], v[48:49], 0xbe280bf1c185d970
	v_fmaak_f64 v[4:5], v[14:15], v[4:5], 0xbe3098023947d825
	v_fmaak_f64 v[0:1], v[14:15], v[0:1], 0x3e219500abb6c6ca
	v_fmaak_f64 v[18:19], v[14:15], v[18:19], 0xbe4681ca09d0c785
	v_fmaak_f64 v[2:3], v[14:15], v[2:3], 0xbe37d0d8202f2840
	v_fmaak_f64 v[6:7], v[14:15], v[6:7], 0x3e3e1780fe356336
	v_fmaak_f64 v[30:31], v[14:15], v[30:31], 0x3e639e23d957c93c
	v_fmaak_f64 v[34:35], v[14:15], v[34:35], 0xbe837013ab0781a2
	v_fmaak_f64 v[4:5], v[14:15], v[4:5], 0x3e66591d3f85cd9e
	v_fmaak_f64 v[48:49], v[14:15], v[48:49], 0x3e66464dfcb21465
	v_fmaak_f64 v[0:1], v[14:15], v[0:1], 0xbe65a3d718a80bc3
	v_fmaak_f64 v[2:3], v[14:15], v[2:3], 0x3e6dd18fbe9add63
	v_fmaak_f64 v[6:7], v[14:15], v[6:7], 0xbe75cc2651b8adc1
	v_fmaak_f64 v[18:19], v[14:15], v[18:19], 0x3e501d7488a357e9
	v_fmaak_f64 v[30:31], v[14:15], v[30:31], 0x3ea14fcd22aea77f
	v_fmaak_f64 v[4:5], v[14:15], v[4:5], 0xbe9b7a8498501698
	v_fmaak_f64 v[34:35], v[14:15], v[34:35], 0xbec069ffc8244f84
	v_fmaak_f64 v[48:49], v[14:15], v[48:49], 0xbea3e8e56b673eb1
	v_fmaak_f64 v[2:3], v[14:15], v[2:3], 0xbea0becbb04673a1
	v_fmaak_f64 v[6:7], v[14:15], v[6:7], 0x3ead71ebb3359e95
	v_fmaak_f64 v[0:1], v[14:15], v[0:1], 0x3ea8798fe17c5cbf
	v_fmaak_f64 v[18:19], v[14:15], v[18:19], 0x3ecd43795794e156
	v_fmaak_f64 v[4:5], v[14:15], v[4:5], 0x3ece893ef6613800
	v_fmaak_f64 v[30:31], v[14:15], v[30:31], 0xbee3f9189f26c5e3
	v_fmaak_f64 v[34:35], v[14:15], v[34:35], 0xbee68a5bf0cc2e4a
	v_fmaak_f64 v[2:3], v[14:15], v[2:3], 0x3ed0a3004be33120
	v_fmaak_f64 v[6:7], v[14:15], v[6:7], 0xbee268cf509c48de
	v_fmaak_f64 v[48:49], v[14:15], v[48:49], 0x3ee121595fee3715
	v_fmaak_f64 v[0:1], v[14:15], v[0:1], 0xbee9d1d9bb52739a
	v_fmaak_f64 v[4:5], v[14:15], v[4:5], 0xbefe44cbd415e2a9
	v_fmaak_f64 v[18:19], v[14:15], v[18:19], 0xbf1c7e57b27e6328
	v_fmaak_f64 v[30:31], v[14:15], v[30:31], 0xbf2c624b4bafc709
	v_fmaak_f64 v[2:3], v[14:15], v[2:3], 0xbefcb63410769fab
	v_fmaak_f64 v[6:7], v[14:15], v[6:7], 0x3f15160cd3cbde63
	v_fmaak_f64 v[34:35], v[14:15], v[34:35], 0x3f2392e1f7b45f31
	v_fmaak_f64 v[48:49], v[14:15], v[48:49], 0xbf1c9223ca08ffc7
	v_fmaak_f64 v[4:5], v[14:15], v[4:5], 0x3f2a4831c6d27831
	v_fmaak_f64 v[0:1], v[14:15], v[0:1], 0x3f28bef648bb1113
	v_fmaak_f64 v[18:19], v[14:15], v[18:19], 0x3f610b19f299baff
	v_fmaak_f64 v[2:3], v[14:15], v[2:3], 0x3f24fc4c8eb897f6
	v_fmaak_f64 v[6:7], v[14:15], v[6:7], 0xbf45c349a1526642
	v_fmaak_f64 v[30:31], v[14:15], v[30:31], 0x3f82813640f6c1c0
	v_fmaak_f64 v[34:35], v[14:15], v[34:35], 0x3fa8f994c76edd7a
	v_fmaak_f64 v[4:5], v[14:15], v[4:5], 0xbf53767e47cfe6cc
	v_fmaak_f64 v[48:49], v[14:15], v[48:49], 0x3f5728fb8e8036bf
	v_fmaak_f64 v[0:1], v[14:15], v[0:1], 0xbf64bf4ee7d9937a
	v_fmaak_f64 v[2:3], v[14:15], v[2:3], 0xbf490d995142e5a5
	v_fmaak_f64 v[6:7], v[14:15], v[6:7], 0x3f73b58dc5a45ea5
	v_fmaak_f64 v[18:19], v[14:15], v[18:19], 0xbf9dd1c91431be7c
	v_fmaak_f64 v[30:31], v[14:15], v[30:31], 0xbfc29fec57bfcb5f
	v_fmaak_f64 v[4:5], v[14:15], v[4:5], 0x3f778fa82eed2b86
	v_fmaak_f64 v[34:35], v[14:15], v[34:35], 0xbff1b088abfb28f0
	v_fmaak_f64 v[48:49], v[14:15], v[48:49], 0xbf9335842fac9fb6
	v_fmaak_f64 v[2:3], v[14:15], v[2:3], 0x3f670beb2cdcd585
	v_fmaak_f64 v[50:51], v[14:15], v[6:7], 0xbf9d9781ddd252a0
	v_fmaak_f64 v[0:1], v[14:15], v[0:1], 0x3f99b902d0ce077a
	v_fmaak_f64 v[98:99], v[14:15], v[4:5], 0xbf95714e6c28b17a
	v_fmaak_f64 v[4:5], v[14:15], v[30:31], 0x3ff36e8e08c65dbe
	v_fmaak_f64 v[6:7], v[14:15], v[34:35], 0x402030a67fbaaa3f
	v_fmaak_f64 v[100:101], v[14:15], v[2:3], 0xbf7d562f4b59bc3e
	v_fmaak_f64 v[2:3], v[14:15], v[18:19], 0x3fd16cfa5e7c239f
	v_fmaak_f64 v[52:53], v[14:15], v[48:49], 0x3fd28db312c49f80
	v_fmaak_f64 v[54:55], v[14:15], v[50:51], 0x3fc3ffe8ee602011
	v_fmaak_f64 v[48:49], v[14:15], v[98:99], 0x3fa8d9d3a5b47061
	v_fmaak_f64 v[50:51], v[14:15], v[100:101], 0x3f83c906f3bb9102
                                        ; implicit-def: $vgpr14_vgpr15
.LBB0_51:
	s_and_not1_saveexec_b32 s9, s0
	s_cbranch_execz .LBB0_77
; %bb.52:
	s_mov_b32 s0, exec_lo
                                        ; implicit-def: $vgpr50_vgpr51
                                        ; implicit-def: $vgpr54_vgpr55
                                        ; implicit-def: $vgpr6_vgpr7
                                        ; implicit-def: $vgpr2_vgpr3
	v_cmpx_ge_f64_e32 0x40240000, v[14:15]
	s_xor_b32 s0, exec_lo, s0
	s_cbranch_execz .LBB0_54
; %bb.53:
	v_add_f64_e32 v[14:15], 0xc01e0000, v[14:15]
	s_mov_b64 s[18:19], 0xbc71f3deb3b9451b
	s_mov_b64 s[2:3], 0x3cf4e80fb96ca4e1
	;; [unrolled: 1-line block ×6, first 2 shown]
	s_delay_alu instid0(VALU_DEP_1)
	v_fmaak_f64 v[2:3], s[18:19], v[14:15], 0x3cb288630403745f
	v_fmaak_f64 v[0:1], s[2:3], v[14:15], 0xbcfc471b379449e6
	s_mov_b64 s[2:3], 0x3ca7bdec876af24e
	s_mov_b64 s[18:19], 0xbcb9be14792055fd
	v_fmaak_f64 v[4:5], s[2:3], v[14:15], 0xbce82f78a7f481ca
	v_fmaak_f64 v[34:35], s[18:19], v[14:15], 0x3cfc2ded431b4ca0
	;; [unrolled: 1-line block ×94, first 2 shown]
                                        ; implicit-def: $vgpr14_vgpr15
.LBB0_54:
	s_and_not1_saveexec_b32 s10, s0
	s_cbranch_execz .LBB0_76
; %bb.55:
                                        ; implicit-def: $vgpr50_vgpr51
                                        ; implicit-def: $vgpr54_vgpr55
                                        ; implicit-def: $vgpr6_vgpr7
                                        ; implicit-def: $vgpr2_vgpr3
	s_mov_b32 s0, exec_lo
	v_cmpx_ge_f64_e32 0x402e0000, v[14:15]
	s_xor_b32 s1, exec_lo, s0
	s_cbranch_execz .LBB0_57
; %bb.56:
	s_mov_b64 s[2:3], 0xbfc80b5db621ca13
	v_add_f64_e32 v[98:99], 0xc0290000, v[14:15]
	v_div_scale_f64 v[0:1], null, v[14:15], v[14:15], s[2:3]
	v_div_scale_f64 v[6:7], vcc_lo, s[2:3], v[14:15], s[2:3]
	s_delay_alu instid0(VALU_DEP_2) | instskip(SKIP_1) | instid1(TRANS32_DEP_1)
	v_rcp_f64_e32 v[2:3], v[0:1]
	v_nop
	v_fma_f64 v[4:5], -v[0:1], v[2:3], 1.0
	s_delay_alu instid0(VALU_DEP_1) | instskip(NEXT) | instid1(VALU_DEP_1)
	v_fmac_f64_e32 v[2:3], v[2:3], v[4:5]
	v_fma_f64 v[4:5], -v[0:1], v[2:3], 1.0
	s_delay_alu instid0(VALU_DEP_1) | instskip(NEXT) | instid1(VALU_DEP_1)
	v_fmac_f64_e32 v[2:3], v[2:3], v[4:5]
	v_mul_f64_e32 v[4:5], v[6:7], v[2:3]
	s_delay_alu instid0(VALU_DEP_1) | instskip(NEXT) | instid1(VALU_DEP_1)
	v_fma_f64 v[0:1], -v[0:1], v[4:5], v[6:7]
	v_div_fmas_f64 v[0:1], v[0:1], v[2:3], v[4:5]
	s_delay_alu instid0(VALU_DEP_1) | instskip(SKIP_1) | instid1(VALU_DEP_1)
	v_div_fixup_f64 v[0:1], v[0:1], v[14:15], s[2:3]
	s_mov_b64 s[2:3], 0x3fe921fb54442d15
	v_add_f64_e32 v[0:1], 0x3fcd6df81930dd58, v[0:1]
	s_delay_alu instid0(VALU_DEP_1) | instskip(SKIP_1) | instid1(VALU_DEP_2)
	v_div_scale_f64 v[2:3], null, v[14:15], v[14:15], v[0:1]
	v_div_scale_f64 v[18:19], vcc_lo, v[0:1], v[14:15], v[0:1]
	v_rcp_f64_e32 v[4:5], v[2:3]
	v_nop
	s_delay_alu instid0(TRANS32_DEP_1) | instskip(NEXT) | instid1(VALU_DEP_1)
	v_fma_f64 v[6:7], -v[2:3], v[4:5], 1.0
	v_fmac_f64_e32 v[4:5], v[4:5], v[6:7]
	s_delay_alu instid0(VALU_DEP_1) | instskip(NEXT) | instid1(VALU_DEP_1)
	v_fma_f64 v[6:7], -v[2:3], v[4:5], 1.0
	v_fmac_f64_e32 v[4:5], v[4:5], v[6:7]
	s_delay_alu instid0(VALU_DEP_1) | instskip(NEXT) | instid1(VALU_DEP_1)
	v_mul_f64_e32 v[6:7], v[18:19], v[4:5]
	v_fma_f64 v[2:3], -v[2:3], v[6:7], v[18:19]
	s_delay_alu instid0(VALU_DEP_1) | instskip(SKIP_1) | instid1(VALU_DEP_2)
	v_div_fmas_f64 v[2:3], v[2:3], v[4:5], v[6:7]
	v_div_scale_f64 v[4:5], null, v[14:15], v[14:15], s[2:3]
	v_div_fixup_f64 v[0:1], v[2:3], v[14:15], v[0:1]
	s_delay_alu instid0(VALU_DEP_2) | instskip(NEXT) | instid1(VALU_DEP_1)
	v_rcp_f64_e32 v[18:19], v[4:5]
	v_add_f64_e32 v[0:1], 0xbfdfee97a84e6e89, v[0:1]
	s_delay_alu instid0(TRANS32_DEP_1) | instskip(NEXT) | instid1(VALU_DEP_2)
	v_fma_f64 v[34:35], -v[4:5], v[18:19], 1.0
	v_div_scale_f64 v[2:3], null, v[14:15], v[14:15], v[0:1]
	v_div_scale_f64 v[48:49], vcc_lo, v[0:1], v[14:15], v[0:1]
	s_delay_alu instid0(VALU_DEP_3) | instskip(NEXT) | instid1(VALU_DEP_3)
	v_fmac_f64_e32 v[18:19], v[18:19], v[34:35]
	v_rcp_f64_e32 v[6:7], v[2:3]
	s_delay_alu instid0(VALU_DEP_1) | instskip(NEXT) | instid1(TRANS32_DEP_1)
	v_fma_f64 v[34:35], -v[4:5], v[18:19], 1.0
	v_fma_f64 v[30:31], -v[2:3], v[6:7], 1.0
	s_delay_alu instid0(VALU_DEP_2) | instskip(NEXT) | instid1(VALU_DEP_2)
	v_fmac_f64_e32 v[18:19], v[18:19], v[34:35]
	v_fmac_f64_e32 v[6:7], v[6:7], v[30:31]
	s_delay_alu instid0(VALU_DEP_1) | instskip(NEXT) | instid1(VALU_DEP_1)
	v_fma_f64 v[30:31], -v[2:3], v[6:7], 1.0
	v_fmac_f64_e32 v[6:7], v[6:7], v[30:31]
	v_div_scale_f64 v[30:31], s0, s[2:3], v[14:15], s[2:3]
	s_delay_alu instid0(VALU_DEP_2) | instskip(NEXT) | instid1(VALU_DEP_2)
	v_mul_f64_e32 v[34:35], v[48:49], v[6:7]
	v_mul_f64_e32 v[50:51], v[30:31], v[18:19]
	s_delay_alu instid0(VALU_DEP_2) | instskip(NEXT) | instid1(VALU_DEP_2)
	v_fma_f64 v[2:3], -v[2:3], v[34:35], v[48:49]
	v_fma_f64 v[4:5], -v[4:5], v[50:51], v[30:31]
	s_delay_alu instid0(VALU_DEP_2) | instskip(SKIP_1) | instid1(VALU_DEP_2)
	v_div_fmas_f64 v[2:3], v[2:3], v[6:7], v[34:35]
	s_mov_b32 vcc_lo, s0
	v_div_fmas_f64 v[4:5], v[4:5], v[18:19], v[50:51]
	v_mul_f64_e32 v[18:19], 0xbff71547652b82fe, v[14:15]
	s_delay_alu instid0(VALU_DEP_3) | instskip(NEXT) | instid1(VALU_DEP_3)
	v_div_fixup_f64 v[0:1], v[2:3], v[14:15], v[0:1]
	v_div_fixup_f64 v[4:5], v[4:5], v[14:15], s[2:3]
	s_delay_alu instid0(VALU_DEP_3) | instskip(SKIP_1) | instid1(VALU_DEP_3)
	v_rndne_f64_e32 v[18:19], v[18:19]
	s_mov_b64 s[2:3], 0xbfe62e42fefa39ef
	v_add_f64_e32 v[0:1], 0xbef6fb2b3edd2a8f, v[0:1]
	s_delay_alu instid0(VALU_DEP_3) | instskip(NEXT) | instid1(VALU_DEP_3)
	v_cmp_gt_f64_e32 vcc_lo, 0x10000000, v[4:5]
	v_fma_f64 v[48:49], v[18:19], s[2:3], -v[14:15]
	s_mov_b64 s[2:3], 0x3e5ade156a5dcb37
	v_cndmask_b32_e64 v6, 0, 0x100, vcc_lo
	s_delay_alu instid0(VALU_DEP_2) | instskip(NEXT) | instid1(VALU_DEP_2)
	v_fmamk_f64 v[48:49], v[18:19], 0xbc7abc9e3b39803f, v[48:49]
	v_ldexp_f64 v[4:5], v[4:5], v6
	s_delay_alu instid0(VALU_DEP_2) | instskip(SKIP_1) | instid1(VALU_DEP_1)
	v_fmaak_f64 v[50:51], s[2:3], v[48:49], 0x3e928af3fca7ab0c
	s_mov_b64 s[2:3], 0x3c4ac8eb0e39e4c1
	v_fmaak_f64 v[50:51], v[48:49], v[50:51], 0x3ec71dee623fde64
	s_delay_alu instid0(VALU_DEP_1) | instskip(NEXT) | instid1(VALU_DEP_1)
	v_fmaak_f64 v[50:51], v[48:49], v[50:51], 0x3efa01997c89e6b0
	v_fmaak_f64 v[50:51], v[48:49], v[50:51], 0x3f2a01a014761f6e
	v_rsq_f64_e32 v[6:7], v[4:5]
	v_nop
	s_delay_alu instid0(TRANS32_DEP_1) | instskip(SKIP_1) | instid1(VALU_DEP_1)
	v_mul_f64_e32 v[30:31], v[4:5], v[6:7]
	v_mul_f64_e32 v[6:7], 0.5, v[6:7]
	v_fma_f64 v[34:35], -v[6:7], v[30:31], 0.5
	s_delay_alu instid0(VALU_DEP_1) | instskip(SKIP_1) | instid1(VALU_DEP_2)
	v_fmac_f64_e32 v[30:31], v[30:31], v[34:35]
	v_fmac_f64_e32 v[6:7], v[6:7], v[34:35]
	v_fma_f64 v[34:35], -v[30:31], v[30:31], v[4:5]
	s_delay_alu instid0(VALU_DEP_1) | instskip(SKIP_1) | instid1(VALU_DEP_1)
	v_fmac_f64_e32 v[30:31], v[34:35], v[6:7]
	v_fmaak_f64 v[34:35], v[48:49], v[50:51], 0x3f56c16c1852b7b0
	v_fmaak_f64 v[34:35], v[48:49], v[34:35], 0x3f81111111122322
	s_delay_alu instid0(VALU_DEP_1) | instskip(NEXT) | instid1(VALU_DEP_1)
	v_fmaak_f64 v[34:35], v[48:49], v[34:35], 0x3fa55555555502a1
	v_fmaak_f64 v[34:35], v[48:49], v[34:35], 0x3fc5555555555511
	s_delay_alu instid0(VALU_DEP_1) | instskip(SKIP_1) | instid1(VALU_DEP_2)
	v_fmaak_f64 v[34:35], v[48:49], v[34:35], 0x3fe000000000000b
	v_fma_f64 v[50:51], -v[30:31], v[30:31], v[4:5]
	v_fma_f64 v[34:35], v[48:49], v[34:35], 1.0
	s_delay_alu instid0(VALU_DEP_2) | instskip(SKIP_3) | instid1(VALU_DEP_4)
	v_fmac_f64_e32 v[30:31], v[50:51], v[6:7]
	v_fmaak_f64 v[6:7], s[2:3], v[98:99], 0xbc8ab66cb9f3d158
	v_cvt_i32_f64_e32 v50, v[18:19]
	s_mov_b64 s[2:3], 0xbc882fbf6a729bc1
	v_fma_f64 v[18:19], v[48:49], v[34:35], 1.0
	s_delay_alu instid0(VALU_DEP_3) | instskip(SKIP_2) | instid1(VALU_DEP_3)
	v_fmaak_f64 v[2:3], v[98:99], v[6:7], 0x3cc69ac2a9a26937
	v_cndmask_b32_e64 v6, 0, 0xffffff80, vcc_lo
	v_cmp_class_f64_e64 vcc_lo, v[4:5], 0x260
	v_fmaak_f64 v[2:3], v[98:99], v[2:3], 0xbd041f4129cb45e0
	s_delay_alu instid0(VALU_DEP_1) | instskip(NEXT) | instid1(VALU_DEP_1)
	v_fmaak_f64 v[2:3], v[98:99], v[2:3], 0x3d40d06dd9cbb0dd
	v_fmaak_f64 v[2:3], v[98:99], v[2:3], 0xbd7998cc05b4a1d3
	v_ldexp_f64 v[6:7], v[30:31], v6
	v_ldexp_f64 v[14:15], v[18:19], v50
	s_delay_alu instid0(VALU_DEP_3) | instskip(SKIP_2) | instid1(VALU_DEP_2)
	v_fmaak_f64 v[2:3], v[98:99], v[2:3], 0x3db20abf0aeb4e9b
	v_fmaak_f64 v[18:19], s[2:3], v[98:99], 0x3cc569db84a0c460
	s_mov_b64 s[2:3], 0xbcfc0650cf06091d
	v_fmaak_f64 v[2:3], v[98:99], v[2:3], 0xbde7a347e431a3d5
	s_delay_alu instid0(VALU_DEP_2) | instskip(NEXT) | instid1(VALU_DEP_2)
	v_fmaak_f64 v[18:19], v[98:99], v[18:19], 0xbd09de5df9e12faa
	v_fmaak_f64 v[2:3], v[98:99], v[2:3], 0x3e1c214a87b95ba7
	s_delay_alu instid0(VALU_DEP_2) | instskip(NEXT) | instid1(VALU_DEP_2)
	v_fmaak_f64 v[18:19], v[98:99], v[18:19], 0x3d4a7a1ca2d91270
	v_fmaak_f64 v[2:3], v[98:99], v[2:3], 0xbe4de6a9ac1f01c4
	s_delay_alu instid0(VALU_DEP_2) | instskip(SKIP_1) | instid1(VALU_DEP_3)
	v_fmaak_f64 v[18:19], v[98:99], v[18:19], 0xbd853ad782d3b81b
	v_dual_cndmask_b32 v5, v7, v5 :: v_dual_cndmask_b32 v4, v6, v4
	v_fmaak_f64 v[2:3], v[98:99], v[2:3], 0x3e7c9880664a2e56
	s_delay_alu instid0(VALU_DEP_3) | instskip(NEXT) | instid1(VALU_DEP_3)
	v_fmaak_f64 v[6:7], v[98:99], v[18:19], 0x3dc289d8f1c8d04f
	v_fmac_f64_e32 v[4:5], v[0:1], v[14:15]
	s_delay_alu instid0(VALU_DEP_3) | instskip(NEXT) | instid1(VALU_DEP_3)
	v_fmaak_f64 v[0:1], v[98:99], v[2:3], 0xbea86a563147d825
	v_fmaak_f64 v[2:3], v[98:99], v[6:7], 0xbe00f3fb770be2cb
	;; [unrolled: 1-line block ×3, first 2 shown]
	s_mov_b64 s[2:3], 0x3c8c86fc936c32ff
	s_delay_alu instid0(VALU_DEP_3) | instskip(NEXT) | instid1(VALU_DEP_3)
	v_fmaak_f64 v[0:1], v[98:99], v[0:1], 0x3ed1498714a375ba
	v_fmaak_f64 v[2:3], v[98:99], v[2:3], 0x3e3a453679146c07
	s_delay_alu instid0(VALU_DEP_2) | instskip(NEXT) | instid1(VALU_DEP_2)
	v_fmaak_f64 v[0:1], v[98:99], v[0:1], 0xbef2502d1566d217
	v_fmaak_f64 v[2:3], v[98:99], v[2:3], 0xbe71fbf81bf78104
	s_delay_alu instid0(VALU_DEP_2) | instskip(SKIP_1) | instid1(VALU_DEP_3)
	v_fmaak_f64 v[50:51], v[98:99], v[0:1], 0x3f164a3351ff4182
	v_fmaak_f64 v[0:1], v[98:99], v[6:7], 0xbd68131a39716841
	;; [unrolled: 1-line block ×4, first 2 shown]
	s_mov_b64 s[2:3], 0x3cc1a04c2f2cdc3f
	s_delay_alu instid0(SALU_CYCLE_1)
	v_fmaak_f64 v[14:15], s[2:3], v[98:99], 0x3d07f4faf1625bc4
	s_mov_b64 s[2:3], 0x3d2a168291dfd7fc
	v_add_f64_e64 v[4:5], v[4:5], -v[50:51]
	v_fmaak_f64 v[0:1], v[98:99], v[0:1], 0x3db1566a36bc0b49
	v_fmaak_f64 v[2:3], v[98:99], v[2:3], 0xbee0f5b85a32f39e
	;; [unrolled: 1-line block ×3, first 2 shown]
	s_mov_b64 s[2:3], 0x3d313cf26302ea23
	v_fmaak_f64 v[6:7], v[98:99], v[6:7], 0xbcf9375a48e701c6
	v_fmaak_f64 v[14:15], v[98:99], v[14:15], 0xbd2ea8e35ae5bc67
	;; [unrolled: 1-line block ×13, first 2 shown]
	s_delay_alu instid0(VALU_DEP_4) | instskip(NEXT) | instid1(VALU_DEP_4)
	v_fmaak_f64 v[0:1], v[98:99], v[0:1], 0xbe764ca302a9f05b
	v_fmaak_f64 v[48:49], v[98:99], v[2:3], 0x3f7636915b4aa263
	v_fmaak_f64 v[2:3], v[98:99], v[18:19], 0x3dd0b245f864f1fa
	v_fmaak_f64 v[18:19], v[98:99], v[30:31], 0xbdca49c81fcfb25f
	v_fmaak_f64 v[6:7], v[98:99], v[6:7], 0x3dacac6236d5d067
	v_fmaak_f64 v[14:15], v[98:99], v[14:15], 0x3dea3618e54e4884
	v_fmaak_f64 v[0:1], v[98:99], v[0:1], 0x3eb6c2076f550efe
	v_fmaak_f64 v[2:3], v[98:99], v[2:3], 0x3e1b179e2882f8b5
	v_add_f64_e64 v[4:5], v[4:5], -v[48:49]
	v_fmaak_f64 v[18:19], v[98:99], v[18:19], 0x3e1c8867118c1b6d
	v_fmaak_f64 v[6:7], v[98:99], v[6:7], 0x3dd62eab1b0e80de
	;; [unrolled: 1-line block ×11, first 2 shown]
	s_delay_alu instid0(VALU_DEP_3) | instskip(NEXT) | instid1(VALU_DEP_3)
	v_fmaak_f64 v[0:1], v[98:99], v[0:1], 0xbf681fc734bab59b
	v_fmaak_f64 v[2:3], v[98:99], v[2:3], 0x3ed511c2ad7a8204
	s_delay_alu instid0(VALU_DEP_2)
	v_fmaak_f64 v[54:55], v[98:99], v[0:1], 0x3faeca9ebbb21fff
	v_fmaak_f64 v[0:1], v[98:99], v[6:7], 0x3e74be99e999d843
	;; [unrolled: 1-line block ×5, first 2 shown]
	v_add_f64_e64 v[52:53], v[4:5], -v[54:55]
	v_fmaak_f64 v[0:1], v[98:99], v[0:1], 0xbebb18e9f4998eed
	v_fmaak_f64 v[4:5], v[98:99], v[6:7], 0xbef5381e5908bf9d
	;; [unrolled: 1-line block ×4, first 2 shown]
	s_delay_alu instid0(VALU_DEP_4) | instskip(NEXT) | instid1(VALU_DEP_4)
	v_fmaak_f64 v[0:1], v[98:99], v[0:1], 0x3f05c3291d8533a2
	v_fmaak_f64 v[4:5], v[98:99], v[4:5], 0x3f4022105383a2e3
	s_delay_alu instid0(VALU_DEP_4) | instskip(NEXT) | instid1(VALU_DEP_4)
	v_fmaak_f64 v[6:7], v[98:99], v[6:7], 0x3f66242a4847c5e4
	v_fmaak_f64 v[2:3], v[98:99], v[2:3], 0x3f9cba2de1eb1399
	;; [unrolled: 3-line block ×6, first 2 shown]
                                        ; implicit-def: $vgpr14_vgpr15
.LBB0_57:
	s_and_not1_saveexec_b32 s11, s1
	s_cbranch_execz .LBB0_75
; %bb.58:
                                        ; implicit-def: $vgpr50_vgpr51
                                        ; implicit-def: $vgpr54_vgpr55
                                        ; implicit-def: $vgpr6_vgpr7
                                        ; implicit-def: $vgpr2_vgpr3
	s_mov_b32 s0, exec_lo
	v_cmpx_ge_f64_e32 0x40340000, v[14:15]
	s_xor_b32 s1, exec_lo, s0
	s_cbranch_execz .LBB0_60
; %bb.59:
	s_mov_b64 s[2:3], 0x3fe921fb54442d15
	s_mov_b64 s[12:13], 0x3fc91e26b4d0174d
	v_div_scale_f64 v[0:1], null, v[14:15], v[14:15], s[2:3]
	v_div_scale_f64 v[2:3], null, v[14:15], v[14:15], s[12:13]
	v_div_scale_f64 v[34:35], vcc_lo, s[2:3], v[14:15], s[2:3]
	s_delay_alu instid0(VALU_DEP_3) | instskip(NEXT) | instid1(VALU_DEP_2)
	v_rcp_f64_e32 v[4:5], v[0:1]
	v_rcp_f64_e32 v[6:7], v[2:3]
	s_delay_alu instid0(TRANS32_DEP_2) | instskip(NEXT) | instid1(TRANS32_DEP_1)
	v_fma_f64 v[18:19], -v[0:1], v[4:5], 1.0
	v_fma_f64 v[30:31], -v[2:3], v[6:7], 1.0
	s_delay_alu instid0(VALU_DEP_2) | instskip(NEXT) | instid1(VALU_DEP_2)
	v_fmac_f64_e32 v[4:5], v[4:5], v[18:19]
	v_fmac_f64_e32 v[6:7], v[6:7], v[30:31]
	s_delay_alu instid0(VALU_DEP_2) | instskip(NEXT) | instid1(VALU_DEP_2)
	v_fma_f64 v[18:19], -v[0:1], v[4:5], 1.0
	v_fma_f64 v[30:31], -v[2:3], v[6:7], 1.0
	s_delay_alu instid0(VALU_DEP_2) | instskip(SKIP_1) | instid1(VALU_DEP_3)
	v_fmac_f64_e32 v[4:5], v[4:5], v[18:19]
	v_div_scale_f64 v[18:19], s0, s[12:13], v[14:15], s[12:13]
	v_fmac_f64_e32 v[6:7], v[6:7], v[30:31]
	s_delay_alu instid0(VALU_DEP_3) | instskip(NEXT) | instid1(VALU_DEP_2)
	v_mul_f64_e32 v[30:31], v[34:35], v[4:5]
	v_mul_f64_e32 v[48:49], v[18:19], v[6:7]
	s_delay_alu instid0(VALU_DEP_2) | instskip(SKIP_1) | instid1(VALU_DEP_3)
	v_fma_f64 v[0:1], -v[0:1], v[30:31], v[34:35]
	v_mul_f64_e32 v[34:35], 0xbff71547652b82fe, v[14:15]
	v_fma_f64 v[2:3], -v[2:3], v[48:49], v[18:19]
	s_delay_alu instid0(VALU_DEP_3) | instskip(SKIP_1) | instid1(VALU_DEP_2)
	v_div_fmas_f64 v[0:1], v[0:1], v[4:5], v[30:31]
	s_mov_b32 vcc_lo, s0
	v_div_fmas_f64 v[2:3], v[2:3], v[6:7], v[48:49]
	s_delay_alu instid0(VALU_DEP_2) | instskip(SKIP_1) | instid1(VALU_DEP_2)
	v_div_fixup_f64 v[0:1], v[0:1], v[14:15], s[2:3]
	s_mov_b64 s[2:3], 0xbfe62e42fefa39ef
	v_div_fixup_f64 v[2:3], v[2:3], v[14:15], s[12:13]
	s_mov_b64 s[12:13], 0x3ce13fa674e4f6e6
	s_delay_alu instid0(VALU_DEP_2) | instskip(NEXT) | instid1(VALU_DEP_2)
	v_cmp_gt_f64_e64 s0, 0x10000000, v[0:1]
	v_add_f64_e32 v[2:3], 0xbfdfce1180245b5f, v[2:3]
	s_delay_alu instid0(VALU_DEP_2) | instskip(NEXT) | instid1(VALU_DEP_2)
	v_cndmask_b32_e64 v6, 0, 0x100, s0
	v_div_scale_f64 v[4:5], null, v[14:15], v[14:15], v[2:3]
	s_delay_alu instid0(VALU_DEP_2) | instskip(SKIP_1) | instid1(VALU_DEP_3)
	v_ldexp_f64 v[0:1], v[0:1], v6
	v_div_scale_f64 v[54:55], vcc_lo, v[2:3], v[14:15], v[2:3]
	v_rcp_f64_e32 v[6:7], v[4:5]
	s_delay_alu instid0(VALU_DEP_2) | instskip(NEXT) | instid1(TRANS32_DEP_2)
	v_rsq_f64_e32 v[18:19], v[0:1]
	v_fma_f64 v[30:31], -v[4:5], v[6:7], 1.0
	s_delay_alu instid0(VALU_DEP_1) | instskip(SKIP_1) | instid1(VALU_DEP_2)
	v_fmac_f64_e32 v[6:7], v[6:7], v[30:31]
	v_rndne_f64_e32 v[30:31], v[34:35]
	v_fma_f64 v[50:51], -v[4:5], v[6:7], 1.0
	s_delay_alu instid0(VALU_DEP_2) | instskip(SKIP_1) | instid1(VALU_DEP_2)
	v_fma_f64 v[52:53], v[30:31], s[2:3], -v[14:15]
	s_mov_b64 s[2:3], 0x3e5ade156a5dcb37
	v_fmac_f64_e32 v[6:7], v[6:7], v[50:51]
	s_delay_alu instid0(VALU_DEP_2) | instskip(SKIP_1) | instid1(VALU_DEP_2)
	v_fmamk_f64 v[50:51], v[30:31], 0xbc7abc9e3b39803f, v[52:53]
	v_cvt_i32_f64_e32 v30, v[30:31]
	v_fmaak_f64 v[52:53], s[2:3], v[50:51], 0x3e928af3fca7ab0c
	s_mov_b64 s[2:3], 0xbcaae0dbe9686ee0
	s_delay_alu instid0(VALU_DEP_1) | instskip(NEXT) | instid1(VALU_DEP_1)
	v_fmaak_f64 v[52:53], v[50:51], v[52:53], 0x3ec71dee623fde64
	v_fmaak_f64 v[52:53], v[50:51], v[52:53], 0x3efa01997c89e6b0
	s_delay_alu instid0(VALU_DEP_1) | instskip(SKIP_1) | instid1(VALU_DEP_1)
	v_fmaak_f64 v[52:53], v[50:51], v[52:53], 0x3f2a01a014761f6e
	v_mul_f64_e32 v[98:99], v[54:55], v[6:7]
	v_fma_f64 v[4:5], -v[4:5], v[98:99], v[54:55]
	s_delay_alu instid0(VALU_DEP_1) | instskip(SKIP_1) | instid1(TRANS32_DEP_1)
	v_div_fmas_f64 v[4:5], v[4:5], v[6:7], v[98:99]
	v_cmp_class_f64_e64 vcc_lo, v[0:1], 0x260
	v_mul_f64_e32 v[48:49], v[0:1], v[18:19]
	v_mul_f64_e32 v[18:19], 0.5, v[18:19]
	v_add_f64_e32 v[6:7], 0xc0318000, v[14:15]
	v_div_fixup_f64 v[2:3], v[4:5], v[14:15], v[2:3]
	v_cndmask_b32_e64 v14, 0, 0xffffff80, s0
	s_delay_alu instid0(VALU_DEP_4) | instskip(NEXT) | instid1(VALU_DEP_4)
	v_fma_f64 v[34:35], -v[18:19], v[48:49], 0.5
	v_fmaak_f64 v[4:5], s[2:3], v[6:7], 0x3cd5040b577756a9
	s_mov_b64 s[2:3], 0xbc8ff640cf441341
	s_delay_alu instid0(VALU_DEP_1) | instskip(NEXT) | instid1(VALU_DEP_1)
	v_fmaak_f64 v[4:5], v[6:7], v[4:5], 0x3d1cdd6632956878
	v_fmaak_f64 v[4:5], v[6:7], v[4:5], 0xbd5fa7823bf33b8f
	s_delay_alu instid0(VALU_DEP_1) | instskip(NEXT) | instid1(VALU_DEP_1)
	v_fmaak_f64 v[4:5], v[6:7], v[4:5], 0x3d7f0dba39b3fd73
	v_fmaak_f64 v[4:5], v[6:7], v[4:5], 0x3da3e3ca59ed8bc1
	v_add_f64_e32 v[2:3], 0xbf0f8a146403a8cf, v[2:3]
	v_fmac_f64_e32 v[48:49], v[48:49], v[34:35]
	v_fmac_f64_e32 v[18:19], v[18:19], v[34:35]
	s_delay_alu instid0(VALU_DEP_4) | instskip(NEXT) | instid1(VALU_DEP_1)
	v_fmaak_f64 v[4:5], v[6:7], v[4:5], 0x3e0124a3426091bc
	v_fmaak_f64 v[4:5], v[6:7], v[4:5], 0xbe56c26d407bb45c
	s_delay_alu instid0(VALU_DEP_1) | instskip(NEXT) | instid1(VALU_DEP_1)
	v_fmaak_f64 v[4:5], v[6:7], v[4:5], 0x3e9abaaa07549f8a
	v_fmaak_f64 v[4:5], v[6:7], v[4:5], 0xbed70b082ccfb198
	s_delay_alu instid0(VALU_DEP_1) | instskip(SKIP_1) | instid1(VALU_DEP_2)
	v_fmaak_f64 v[4:5], v[6:7], v[4:5], 0x3f144aa9cf963c64
	v_fma_f64 v[34:35], -v[48:49], v[48:49], v[0:1]
	v_fmaak_f64 v[4:5], v[6:7], v[4:5], 0xbf58480a238187b3
	s_delay_alu instid0(VALU_DEP_1) | instskip(NEXT) | instid1(VALU_DEP_3)
	v_fmaak_f64 v[54:55], v[6:7], v[4:5], 0x3fa97d3dbd044edd
	v_fmac_f64_e32 v[48:49], v[34:35], v[18:19]
	v_fmaak_f64 v[34:35], v[50:51], v[52:53], 0x3f56c16c1852b7b0
	s_delay_alu instid0(VALU_DEP_1) | instskip(NEXT) | instid1(VALU_DEP_1)
	v_fmaak_f64 v[34:35], v[50:51], v[34:35], 0x3f81111111122322
	v_fmaak_f64 v[34:35], v[50:51], v[34:35], 0x3fa55555555502a1
	s_delay_alu instid0(VALU_DEP_1) | instskip(NEXT) | instid1(VALU_DEP_1)
	v_fmaak_f64 v[34:35], v[50:51], v[34:35], 0x3fc5555555555511
	v_fmaak_f64 v[34:35], v[50:51], v[34:35], 0x3fe000000000000b
	v_fma_f64 v[52:53], -v[48:49], v[48:49], v[0:1]
	s_delay_alu instid0(VALU_DEP_2) | instskip(NEXT) | instid1(VALU_DEP_2)
	v_fma_f64 v[34:35], v[50:51], v[34:35], 1.0
	v_fmac_f64_e32 v[48:49], v[52:53], v[18:19]
	s_delay_alu instid0(VALU_DEP_2) | instskip(NEXT) | instid1(VALU_DEP_2)
	v_fma_f64 v[18:19], v[50:51], v[34:35], 1.0
	v_ldexp_f64 v[14:15], v[48:49], v14
	s_delay_alu instid0(VALU_DEP_2) | instskip(SKIP_2) | instid1(VALU_DEP_1)
	v_ldexp_f64 v[18:19], v[18:19], v30
	v_fmaak_f64 v[30:31], s[2:3], v[6:7], 0x3cb35d8848262558
	s_mov_b64 s[2:3], 0xbc2bec8ceccc5622
	v_fmaak_f64 v[30:31], v[6:7], v[30:31], 0x3d0e60923cc7f543
	s_delay_alu instid0(VALU_DEP_1) | instskip(SKIP_1) | instid1(VALU_DEP_2)
	v_fmaak_f64 v[30:31], v[6:7], v[30:31], 0xbd51a5067fa9cc7e
	v_dual_cndmask_b32 v1, v15, v1 :: v_dual_cndmask_b32 v0, v14, v0
	v_fmaak_f64 v[14:15], v[6:7], v[30:31], 0x3d811a438d2c23ca
	v_fmaak_f64 v[30:31], s[12:13], v[6:7], 0x3d10c20843c1bb52
	s_delay_alu instid0(VALU_DEP_3) | instskip(SKIP_2) | instid1(VALU_DEP_4)
	v_fmac_f64_e32 v[0:1], v[2:3], v[18:19]
	v_fmaak_f64 v[2:3], s[2:3], v[6:7], 0x3c61602024326f00
	s_mov_b64 s[2:3], 0x3c892c949a0e0f07
	v_fmaak_f64 v[14:15], v[6:7], v[14:15], 0xbdac8c0af34c4b7c
	s_delay_alu instid0(VALU_DEP_4) | instskip(NEXT) | instid1(VALU_DEP_3)
	v_fmaak_f64 v[30:31], v[6:7], v[30:31], 0xbd5e60ae556f88ca
	v_fmaak_f64 v[2:3], v[6:7], v[2:3], 0xbca0adbffa22987c
	s_delay_alu instid0(VALU_DEP_3) | instskip(NEXT) | instid1(VALU_DEP_3)
	v_fmaak_f64 v[14:15], v[6:7], v[14:15], 0x3df80cdfbfce75fb
	v_fmaak_f64 v[30:31], v[6:7], v[30:31], 0x3d74df8083f273d1
	s_delay_alu instid0(VALU_DEP_3) | instskip(NEXT) | instid1(VALU_DEP_3)
	;; [unrolled: 3-line block ×3, first 2 shown]
	v_fmaak_f64 v[30:31], v[6:7], v[30:31], 0x3dc9602ba1a5ad9e
	v_fmaak_f64 v[2:3], v[6:7], v[2:3], 0xbd2446bb95d3a674
	s_delay_alu instid0(VALU_DEP_3) | instskip(SKIP_2) | instid1(VALU_DEP_4)
	v_fmaak_f64 v[4:5], v[6:7], v[14:15], 0x3e81a238866c1e50
	v_fmaak_f64 v[14:15], s[2:3], v[6:7], 0xbca043d23b3efd91
	s_mov_b64 s[2:3], 0x3cc1f9a959ba863c
	v_fmaak_f64 v[30:31], v[6:7], v[30:31], 0xbe030bfe094a2603
	v_fmaak_f64 v[18:19], s[2:3], v[6:7], 0xbcb2c9aa981b2925
	;; [unrolled: 1-line block ×3, first 2 shown]
	s_mov_b64 s[2:3], 0xbcf87c6858f486e5
	v_fmaak_f64 v[4:5], v[6:7], v[4:5], 0xbeb6f31de0f418b9
	v_add_f64_e64 v[0:1], v[0:1], -v[54:55]
	v_fmaak_f64 v[34:35], s[2:3], v[6:7], 0xbd3fa94869cd265f
	v_fmaak_f64 v[14:15], v[6:7], v[14:15], 0xbcfbb24b1914b161
	v_fmaak_f64 v[18:19], v[6:7], v[18:19], 0xbd35e29735f4923d
	v_fmaak_f64 v[2:3], v[6:7], v[2:3], 0xbd92dd98963ccfb3
	v_fmaak_f64 v[30:31], v[6:7], v[30:31], 0x3df7f7fa6b530bea
	v_fmaak_f64 v[4:5], v[6:7], v[4:5], 0x3ee900135a63e251
	v_fmaak_f64 v[34:35], v[6:7], v[34:35], 0x3d88dcf4899002f2
	v_fmaak_f64 v[14:15], v[6:7], v[14:15], 0x3d3061eb39566f7e
	v_fmaak_f64 v[18:19], v[6:7], v[18:19], 0x3d6449a55759b54f
	v_fmaak_f64 v[2:3], v[6:7], v[2:3], 0x3dcbf71386d480d4
	v_fmaak_f64 v[30:31], v[6:7], v[30:31], 0xbe27fb6e37f0ccff
	v_fmaak_f64 v[4:5], v[6:7], v[4:5], 0xbf22a2d5995899ca
	v_fmaak_f64 v[14:15], v[6:7], v[14:15], 0x3d5ef037330c2342
	v_fmaak_f64 v[18:19], v[6:7], v[18:19], 0x3d9c4a9299195019
	v_fmaak_f64 v[2:3], v[6:7], v[2:3], 0xbe05d559ad904e65
	s_delay_alu instid0(VALU_DEP_4) | instskip(SKIP_4) | instid1(VALU_DEP_4)
	v_fmaak_f64 v[48:49], v[6:7], v[4:5], 0x3f70e6960531f882
	v_fmaak_f64 v[4:5], v[6:7], v[34:35], 0xbdabdb14cc2334eb
	;; [unrolled: 1-line block ×6, first 2 shown]
	s_delay_alu instid0(VALU_DEP_4) | instskip(NEXT) | instid1(VALU_DEP_4)
	v_fmaak_f64 v[14:15], v[6:7], v[14:15], 0x3dd272548371e47a
	v_fmaak_f64 v[18:19], v[6:7], v[18:19], 0x3e0475a587d875e3
	v_add_f64_e64 v[0:1], v[0:1], -v[48:49]
	v_fmaak_f64 v[2:3], v[6:7], v[2:3], 0xbe6e3ef5ffdf3b27
	v_fmaak_f64 v[4:5], v[6:7], v[4:5], 0x3e444dde1035e27f
	v_fmaak_f64 v[14:15], v[6:7], v[14:15], 0x3df0c21f3f80e0fb
	v_fmaak_f64 v[18:19], v[6:7], v[18:19], 0x3e24d400dfdfa6c1
	s_delay_alu instid0(VALU_DEP_4) | instskip(NEXT) | instid1(VALU_DEP_4)
	v_fmaak_f64 v[2:3], v[6:7], v[2:3], 0x3e97f54e2ece27a8
	v_fmaak_f64 v[4:5], v[6:7], v[4:5], 0xbe6f7ea89a77d2dc
	s_delay_alu instid0(VALU_DEP_2) | instskip(NEXT) | instid1(VALU_DEP_2)
	v_fmaak_f64 v[2:3], v[6:7], v[2:3], 0xbec42309145f923d
	v_fmaak_f64 v[4:5], v[6:7], v[4:5], 0xbeb59d6c1d5a4a88
	s_delay_alu instid0(VALU_DEP_2)
	v_fmaak_f64 v[50:51], v[6:7], v[2:3], 0x3f09e8a7a8d7a543
	v_fmaak_f64 v[2:3], v[6:7], v[14:15], 0x3e51fdd7c59c3d44
	;; [unrolled: 1-line block ×5, first 2 shown]
	v_add_f64_e64 v[52:53], v[0:1], -v[50:51]
	v_fmaak_f64 v[0:1], v[6:7], v[2:3], 0xbeaf4c29f1a3d3fd
	v_fmaak_f64 v[2:3], v[6:7], v[14:15], 0xbee80e77b6dd03ff
	v_fmaak_f64 v[14:15], v[6:7], v[18:19], 0xbf11bbfffea0adc2
	v_fmaak_f64 v[4:5], v[6:7], v[4:5], 0xbf48f5ecba23e360
	s_delay_alu instid0(VALU_DEP_4) | instskip(NEXT) | instid1(VALU_DEP_4)
	v_fmaak_f64 v[0:1], v[6:7], v[0:1], 0x3ef9106cffc4948c
	v_fmaak_f64 v[2:3], v[6:7], v[2:3], 0x3f31c6dc6af742f4
	s_delay_alu instid0(VALU_DEP_4) | instskip(NEXT) | instid1(VALU_DEP_4)
	v_fmaak_f64 v[14:15], v[6:7], v[14:15], 0x3f55a5eda6962e43
	v_fmaak_f64 v[4:5], v[6:7], v[4:5], 0x3f83c91942a9b2bf
	;; [unrolled: 3-line block ×6, first 2 shown]
                                        ; implicit-def: $vgpr14_vgpr15
.LBB0_60:
	s_and_not1_saveexec_b32 s3, s1
	s_cbranch_execz .LBB0_74
; %bb.61:
	s_mov_b32 s0, exec_lo
                                        ; implicit-def: $vgpr50_vgpr51
                                        ; implicit-def: $vgpr54_vgpr55
                                        ; implicit-def: $vgpr6_vgpr7
                                        ; implicit-def: $vgpr2_vgpr3
	v_cmpx_ge_f64_e32 0x40418000, v[14:15]
	s_xor_b32 s0, exec_lo, s0
	s_cbranch_execz .LBB0_67
; %bb.62:
	s_mov_b32 s1, exec_lo
                                        ; implicit-def: $vgpr34_vgpr35
	v_cmpx_ge_f64_e32 0x40390000, v[14:15]
	s_xor_b32 s1, exec_lo, s1
	s_cbranch_execz .LBB0_64
; %bb.63:
	s_mov_b64 s[12:13], 0x40d036060c7b11de
	s_mov_b64 s[14:15], 0x3e8f60254cdb917b
	v_div_scale_f64 v[0:1], null, v[14:15], v[14:15], s[12:13]
	s_delay_alu instid0(VALU_DEP_1) | instskip(SKIP_1) | instid1(TRANS32_DEP_1)
	v_rcp_f64_e32 v[2:3], v[0:1]
	v_nop
	v_fma_f64 v[4:5], -v[0:1], v[2:3], 1.0
	s_delay_alu instid0(VALU_DEP_1) | instskip(NEXT) | instid1(VALU_DEP_1)
	v_fmac_f64_e32 v[2:3], v[2:3], v[4:5]
	v_fma_f64 v[4:5], -v[0:1], v[2:3], 1.0
	s_delay_alu instid0(VALU_DEP_1) | instskip(SKIP_1) | instid1(VALU_DEP_1)
	v_fmac_f64_e32 v[2:3], v[2:3], v[4:5]
	v_div_scale_f64 v[4:5], vcc_lo, s[12:13], v[14:15], s[12:13]
	v_mul_f64_e32 v[6:7], v[4:5], v[2:3]
	s_delay_alu instid0(VALU_DEP_1) | instskip(NEXT) | instid1(VALU_DEP_1)
	v_fma_f64 v[0:1], -v[0:1], v[6:7], v[4:5]
	v_div_fmas_f64 v[0:1], v[0:1], v[2:3], v[6:7]
	v_fmaak_f64 v[2:3], s[14:15], v[14:15], 0xbf0400fb71d9123d
	s_delay_alu instid0(VALU_DEP_1) | instskip(NEXT) | instid1(VALU_DEP_1)
	v_fmaak_f64 v[2:3], v[14:15], v[2:3], 0x3f6cc9bd831bb559
	v_fmaak_f64 v[2:3], v[14:15], v[2:3], 0xbfc55122cbd73d1d
	s_delay_alu instid0(VALU_DEP_1) | instskip(NEXT) | instid1(VALU_DEP_1)
	v_fmaak_f64 v[2:3], v[14:15], v[2:3], 0x40133343498ee224
	v_fmaak_f64 v[2:3], v[14:15], v[2:3], 0xc055d443110ecaa3
	v_div_fixup_f64 v[0:1], v[0:1], v[14:15], s[12:13]
	s_delay_alu instid0(VALU_DEP_2) | instskip(NEXT) | instid1(VALU_DEP_1)
	v_fmaak_f64 v[2:3], v[14:15], v[2:3], 0x408e8d7811ae71bd
	v_fmac_f64_e32 v[0:1], v[14:15], v[2:3]
	s_delay_alu instid0(VALU_DEP_1)
	v_add_f64_e32 v[34:35], 0xc0b800ca6c1bb060, v[0:1]
.LBB0_64:
	s_and_not1_saveexec_b32 s1, s1
	s_cbranch_execz .LBB0_66
; %bb.65:
	s_mov_b64 s[12:13], 0x3ed815eb3c3a8062
	s_delay_alu instid0(SALU_CYCLE_1) | instskip(NEXT) | instid1(VALU_DEP_1)
	v_fmaak_f64 v[0:1], s[12:13], v[14:15], 0xbf13e3ca6624dbe0
	v_fmaak_f64 v[0:1], v[14:15], v[0:1], 0x3f2ecfbc79524e87
	s_delay_alu instid0(VALU_DEP_1) | instskip(NEXT) | instid1(VALU_DEP_1)
	v_fmaak_f64 v[0:1], v[14:15], v[0:1], 0xbf6f0844289cd2a5
	v_fmaak_f64 v[0:1], v[14:15], v[0:1], 0x3fd3d4efe9ab0a3c
	s_delay_alu instid0(VALU_DEP_1) | instskip(NEXT) | instid1(VALU_DEP_1)
	v_fmaak_f64 v[0:1], v[14:15], v[0:1], 0xc01c71c09d74101d
	v_fmaak_f64 v[34:35], v[14:15], v[0:1], 0x404bc3cf16734500
.LBB0_66:
	s_or_b32 exec_lo, exec_lo, s1
	s_mov_b64 s[12:13], 0x3fe921fb54442d15
	s_delay_alu instid0(SALU_CYCLE_1) | instskip(NEXT) | instid1(VALU_DEP_1)
	v_div_scale_f64 v[0:1], null, v[14:15], v[14:15], s[12:13]
	v_rcp_f64_e32 v[2:3], v[0:1]
	v_nop
	s_delay_alu instid0(TRANS32_DEP_1) | instskip(NEXT) | instid1(VALU_DEP_1)
	v_fma_f64 v[4:5], -v[0:1], v[2:3], 1.0
	v_fmac_f64_e32 v[2:3], v[2:3], v[4:5]
	s_delay_alu instid0(VALU_DEP_1) | instskip(NEXT) | instid1(VALU_DEP_1)
	v_fma_f64 v[4:5], -v[0:1], v[2:3], 1.0
	v_fmac_f64_e32 v[2:3], v[2:3], v[4:5]
	v_div_scale_f64 v[4:5], vcc_lo, s[12:13], v[14:15], s[12:13]
	s_delay_alu instid0(VALU_DEP_1) | instskip(NEXT) | instid1(VALU_DEP_1)
	v_mul_f64_e32 v[6:7], v[4:5], v[2:3]
	v_fma_f64 v[0:1], -v[0:1], v[6:7], v[4:5]
	s_delay_alu instid0(VALU_DEP_1) | instskip(NEXT) | instid1(VALU_DEP_1)
	v_div_fmas_f64 v[0:1], v[0:1], v[2:3], v[6:7]
	v_div_fixup_f64 v[0:1], v[0:1], v[14:15], s[12:13]
	s_mov_b64 s[12:13], 0xbfe62e42fefa39ef
	s_delay_alu instid0(VALU_DEP_1) | instskip(SKIP_1) | instid1(VALU_DEP_1)
	v_cmp_gt_f64_e32 vcc_lo, 0x10000000, v[0:1]
	v_cndmask_b32_e64 v2, 0, 0x100, vcc_lo
	v_ldexp_f64 v[0:1], v[0:1], v2
	s_delay_alu instid0(VALU_DEP_1) | instskip(SKIP_1) | instid1(TRANS32_DEP_1)
	v_rsq_f64_e32 v[2:3], v[0:1]
	v_nop
	v_mul_f64_e32 v[4:5], v[0:1], v[2:3]
	v_mul_f64_e32 v[2:3], 0.5, v[2:3]
	s_delay_alu instid0(VALU_DEP_1) | instskip(NEXT) | instid1(VALU_DEP_1)
	v_fma_f64 v[6:7], -v[2:3], v[4:5], 0.5
	v_fmac_f64_e32 v[4:5], v[4:5], v[6:7]
	v_fmac_f64_e32 v[2:3], v[2:3], v[6:7]
	s_delay_alu instid0(VALU_DEP_2) | instskip(NEXT) | instid1(VALU_DEP_1)
	v_fma_f64 v[18:19], -v[4:5], v[4:5], v[0:1]
	v_fmac_f64_e32 v[4:5], v[18:19], v[2:3]
	s_delay_alu instid0(VALU_DEP_1) | instskip(NEXT) | instid1(VALU_DEP_1)
	v_fma_f64 v[6:7], -v[4:5], v[4:5], v[0:1]
	v_fmac_f64_e32 v[4:5], v[6:7], v[2:3]
	v_cndmask_b32_e64 v2, 0, 0xffffff80, vcc_lo
	v_cmp_class_f64_e64 vcc_lo, v[0:1], 0x260
	s_delay_alu instid0(VALU_DEP_2) | instskip(NEXT) | instid1(VALU_DEP_1)
	v_ldexp_f64 v[2:3], v[4:5], v2
	v_dual_cndmask_b32 v19, v3, v1 :: v_dual_cndmask_b32 v18, v2, v0
	v_mul_f64_e32 v[0:1], 0xbff71547652b82fe, v[14:15]
	s_delay_alu instid0(VALU_DEP_1) | instskip(NEXT) | instid1(VALU_DEP_1)
	v_rndne_f64_e32 v[0:1], v[0:1]
	v_fma_f64 v[2:3], v[0:1], s[12:13], -v[14:15]
	s_mov_b64 s[12:13], 0x3e5ade156a5dcb37
	s_delay_alu instid0(VALU_DEP_1) | instskip(SKIP_1) | instid1(VALU_DEP_2)
	v_fmamk_f64 v[2:3], v[0:1], 0xbc7abc9e3b39803f, v[2:3]
	v_cvt_i32_f64_e32 v0, v[0:1]
	v_fmaak_f64 v[4:5], s[12:13], v[2:3], 0x3e928af3fca7ab0c
	s_mov_b64 s[12:13], 0xbf075e3cb50e0d5d
	s_delay_alu instid0(VALU_DEP_1) | instskip(NEXT) | instid1(VALU_DEP_1)
	v_fmaak_f64 v[4:5], v[2:3], v[4:5], 0x3ec71dee623fde64
	v_fmaak_f64 v[4:5], v[2:3], v[4:5], 0x3efa01997c89e6b0
	s_delay_alu instid0(VALU_DEP_1) | instskip(NEXT) | instid1(VALU_DEP_1)
	v_fmaak_f64 v[4:5], v[2:3], v[4:5], 0x3f2a01a014761f6e
	v_fmaak_f64 v[4:5], v[2:3], v[4:5], 0x3f56c16c1852b7b0
	;; [unrolled: 3-line block ×4, first 2 shown]
	s_delay_alu instid0(VALU_DEP_1) | instskip(NEXT) | instid1(VALU_DEP_1)
	v_fma_f64 v[4:5], v[2:3], v[4:5], 1.0
	v_fma_f64 v[2:3], v[2:3], v[4:5], 1.0
	s_delay_alu instid0(VALU_DEP_1) | instskip(SKIP_2) | instid1(SALU_CYCLE_1)
	v_ldexp_f64 v[30:31], v[2:3], v0
	v_fmaak_f64 v[0:1], s[12:13], v[14:15], 0x3f54d9ff470dc5ef
	s_mov_b64 s[12:13], 0xc14329ce2d831142
	v_div_scale_f64 v[2:3], null, v[14:15], v[14:15], s[12:13]
	s_delay_alu instid0(VALU_DEP_2) | instskip(NEXT) | instid1(VALU_DEP_1)
	v_fmaak_f64 v[0:1], v[14:15], v[0:1], 0xbfce548a48e0f48f
	v_fmaak_f64 v[0:1], v[14:15], v[0:1], 0x402eddbacc9d5bf4
	s_delay_alu instid0(VALU_DEP_1) | instskip(NEXT) | instid1(VALU_DEP_1)
	v_fmaak_f64 v[0:1], v[14:15], v[0:1], 0xc0805664ad9d3c3f
	v_fmaak_f64 v[0:1], v[14:15], v[0:1], 0x40c4b18f92c83178
	v_mul_f64_e32 v[34:35], v[30:31], v[34:35]
	v_rcp_f64_e32 v[4:5], v[2:3]
	v_nop
	s_delay_alu instid0(TRANS32_DEP_1) | instskip(NEXT) | instid1(VALU_DEP_1)
	v_fma_f64 v[6:7], -v[2:3], v[4:5], 1.0
	v_fmac_f64_e32 v[4:5], v[4:5], v[6:7]
	s_delay_alu instid0(VALU_DEP_1) | instskip(NEXT) | instid1(VALU_DEP_1)
	v_fma_f64 v[6:7], -v[2:3], v[4:5], 1.0
	v_fmac_f64_e32 v[4:5], v[4:5], v[6:7]
	v_div_scale_f64 v[6:7], vcc_lo, s[12:13], v[14:15], s[12:13]
	s_delay_alu instid0(VALU_DEP_1) | instskip(NEXT) | instid1(VALU_DEP_1)
	v_mul_f64_e32 v[48:49], v[6:7], v[4:5]
	v_fma_f64 v[2:3], -v[2:3], v[48:49], v[6:7]
	s_delay_alu instid0(VALU_DEP_1) | instskip(NEXT) | instid1(VALU_DEP_1)
	v_div_fmas_f64 v[2:3], v[2:3], v[4:5], v[48:49]
	v_div_fixup_f64 v[2:3], v[2:3], v[14:15], s[12:13]
	s_mov_b64 s[12:13], 0x3fc2994e486cd916
	s_delay_alu instid0(VALU_DEP_1) | instskip(NEXT) | instid1(VALU_DEP_1)
	v_add_f64_e32 v[2:3], 0x412aa41ebf42f4bf, v[2:3]
	v_div_scale_f64 v[4:5], null, v[14:15], v[14:15], v[2:3]
	s_delay_alu instid0(VALU_DEP_1) | instskip(SKIP_1) | instid1(TRANS32_DEP_1)
	v_rcp_f64_e32 v[6:7], v[4:5]
	v_nop
	v_fma_f64 v[48:49], -v[4:5], v[6:7], 1.0
	s_delay_alu instid0(VALU_DEP_1) | instskip(NEXT) | instid1(VALU_DEP_1)
	v_fmac_f64_e32 v[6:7], v[6:7], v[48:49]
	v_fma_f64 v[48:49], -v[4:5], v[6:7], 1.0
	s_delay_alu instid0(VALU_DEP_1) | instskip(SKIP_1) | instid1(VALU_DEP_1)
	v_fmac_f64_e32 v[6:7], v[6:7], v[48:49]
	v_div_scale_f64 v[48:49], vcc_lo, v[2:3], v[14:15], v[2:3]
	v_mul_f64_e32 v[50:51], v[48:49], v[6:7]
	s_delay_alu instid0(VALU_DEP_1) | instskip(NEXT) | instid1(VALU_DEP_1)
	v_fma_f64 v[4:5], -v[4:5], v[50:51], v[48:49]
	v_div_fmas_f64 v[4:5], v[4:5], v[6:7], v[50:51]
	s_delay_alu instid0(VALU_DEP_1) | instskip(NEXT) | instid1(VALU_DEP_1)
	v_div_fixup_f64 v[2:3], v[4:5], v[14:15], v[2:3]
	v_fmac_f64_e32 v[2:3], v[14:15], v[0:1]
	v_add_f64_e32 v[0:1], 0xbfc2994e486cd916, v[14:15]
	s_delay_alu instid0(VALU_DEP_2) | instskip(NEXT) | instid1(VALU_DEP_2)
	v_add_f64_e32 v[2:3], 0xc0ff8aa61e414e3a, v[2:3]
	v_div_scale_f64 v[4:5], null, v[0:1], v[0:1], s[12:13]
	s_delay_alu instid0(VALU_DEP_1) | instskip(SKIP_1) | instid1(TRANS32_DEP_1)
	v_rcp_f64_e32 v[6:7], v[4:5]
	v_nop
	v_fma_f64 v[48:49], -v[4:5], v[6:7], 1.0
	s_delay_alu instid0(VALU_DEP_1) | instskip(NEXT) | instid1(VALU_DEP_1)
	v_fmac_f64_e32 v[6:7], v[6:7], v[48:49]
	v_fma_f64 v[48:49], -v[4:5], v[6:7], 1.0
	s_delay_alu instid0(VALU_DEP_1) | instskip(SKIP_1) | instid1(VALU_DEP_1)
	v_fmac_f64_e32 v[6:7], v[6:7], v[48:49]
	v_div_scale_f64 v[48:49], vcc_lo, s[12:13], v[0:1], s[12:13]
	v_mul_f64_e32 v[50:51], v[48:49], v[6:7]
	s_delay_alu instid0(VALU_DEP_1) | instskip(NEXT) | instid1(VALU_DEP_1)
	v_fma_f64 v[4:5], -v[4:5], v[50:51], v[48:49]
	v_div_fmas_f64 v[4:5], v[4:5], v[6:7], v[50:51]
	s_delay_alu instid0(VALU_DEP_1) | instskip(SKIP_1) | instid1(VALU_DEP_1)
	v_div_fixup_f64 v[0:1], v[4:5], v[0:1], s[12:13]
	s_mov_b64 s[12:13], 0xbfb41c9f3c19a9e1
	v_fmac_f64_e32 v[0:1], v[2:3], v[30:31]
	v_fmaak_f64 v[2:3], s[12:13], v[14:15], 0x40196d17b4241f23
	s_mov_b64 s[12:13], 0xc1ce869872a31b48
	s_delay_alu instid0(SALU_CYCLE_1) | instskip(NEXT) | instid1(VALU_DEP_2)
	v_div_scale_f64 v[4:5], null, v[14:15], v[14:15], s[12:13]
	v_fmaak_f64 v[2:3], v[14:15], v[2:3], 0xc07524c042dc8407
	s_delay_alu instid0(VALU_DEP_1) | instskip(NEXT) | instid1(VALU_DEP_1)
	v_fmaak_f64 v[2:3], v[14:15], v[2:3], 0x40c8700658a4f161
	v_fmaak_f64 v[2:3], v[14:15], v[2:3], 0xc11356be483433dc
	s_delay_alu instid0(VALU_DEP_4) | instskip(SKIP_1) | instid1(TRANS32_DEP_1)
	v_rcp_f64_e32 v[6:7], v[4:5]
	v_nop
	v_fma_f64 v[48:49], -v[4:5], v[6:7], 1.0
	s_delay_alu instid0(VALU_DEP_1) | instskip(NEXT) | instid1(VALU_DEP_1)
	v_fmac_f64_e32 v[6:7], v[6:7], v[48:49]
	v_fma_f64 v[48:49], -v[4:5], v[6:7], 1.0
	s_delay_alu instid0(VALU_DEP_1) | instskip(SKIP_1) | instid1(VALU_DEP_1)
	v_fmac_f64_e32 v[6:7], v[6:7], v[48:49]
	v_div_scale_f64 v[48:49], vcc_lo, s[12:13], v[14:15], s[12:13]
	v_mul_f64_e32 v[50:51], v[48:49], v[6:7]
	s_delay_alu instid0(VALU_DEP_1) | instskip(NEXT) | instid1(VALU_DEP_1)
	v_fma_f64 v[4:5], -v[4:5], v[50:51], v[48:49]
	v_div_fmas_f64 v[4:5], v[4:5], v[6:7], v[50:51]
	s_delay_alu instid0(VALU_DEP_1) | instskip(SKIP_1) | instid1(VALU_DEP_1)
	v_div_fixup_f64 v[4:5], v[4:5], v[14:15], s[12:13]
	s_mov_b64 s[12:13], 0x3ff56cf1472aa3dd
	v_add_f64_e32 v[4:5], 0x41b60f59894b0319, v[4:5]
	s_delay_alu instid0(VALU_DEP_1) | instskip(NEXT) | instid1(VALU_DEP_1)
	v_div_scale_f64 v[6:7], null, v[14:15], v[14:15], v[4:5]
	v_rcp_f64_e32 v[48:49], v[6:7]
	v_nop
	s_delay_alu instid0(TRANS32_DEP_1) | instskip(NEXT) | instid1(VALU_DEP_1)
	v_fma_f64 v[50:51], -v[6:7], v[48:49], 1.0
	v_fmac_f64_e32 v[48:49], v[48:49], v[50:51]
	s_delay_alu instid0(VALU_DEP_1) | instskip(NEXT) | instid1(VALU_DEP_1)
	v_fma_f64 v[50:51], -v[6:7], v[48:49], 1.0
	v_fmac_f64_e32 v[48:49], v[48:49], v[50:51]
	v_div_scale_f64 v[50:51], vcc_lo, v[4:5], v[14:15], v[4:5]
	s_delay_alu instid0(VALU_DEP_1) | instskip(NEXT) | instid1(VALU_DEP_1)
	v_mul_f64_e32 v[52:53], v[50:51], v[48:49]
	v_fma_f64 v[6:7], -v[6:7], v[52:53], v[50:51]
	s_delay_alu instid0(VALU_DEP_1) | instskip(NEXT) | instid1(VALU_DEP_1)
	v_div_fmas_f64 v[6:7], v[6:7], v[48:49], v[52:53]
	v_div_fixup_f64 v[4:5], v[6:7], v[14:15], v[4:5]
	s_delay_alu instid0(VALU_DEP_1) | instskip(NEXT) | instid1(VALU_DEP_1)
	v_add_f64_e32 v[4:5], 0xc18bfefae41336fa, v[4:5]
	v_div_scale_f64 v[6:7], null, v[14:15], v[14:15], v[4:5]
	s_delay_alu instid0(VALU_DEP_1) | instskip(SKIP_1) | instid1(TRANS32_DEP_1)
	v_rcp_f64_e32 v[48:49], v[6:7]
	v_nop
	v_fma_f64 v[50:51], -v[6:7], v[48:49], 1.0
	s_delay_alu instid0(VALU_DEP_1) | instskip(NEXT) | instid1(VALU_DEP_1)
	v_fmac_f64_e32 v[48:49], v[48:49], v[50:51]
	v_fma_f64 v[50:51], -v[6:7], v[48:49], 1.0
	s_delay_alu instid0(VALU_DEP_1) | instskip(SKIP_1) | instid1(VALU_DEP_1)
	v_fmac_f64_e32 v[48:49], v[48:49], v[50:51]
	v_div_scale_f64 v[50:51], vcc_lo, v[4:5], v[14:15], v[4:5]
	v_mul_f64_e32 v[52:53], v[50:51], v[48:49]
	s_delay_alu instid0(VALU_DEP_1) | instskip(NEXT) | instid1(VALU_DEP_1)
	v_fma_f64 v[6:7], -v[6:7], v[52:53], v[50:51]
	v_div_fmas_f64 v[6:7], v[6:7], v[48:49], v[52:53]
	s_delay_alu instid0(VALU_DEP_1) | instskip(NEXT) | instid1(VALU_DEP_1)
	v_div_fixup_f64 v[4:5], v[6:7], v[14:15], v[4:5]
	v_fmac_f64_e32 v[4:5], v[14:15], v[2:3]
	v_add_f64_e32 v[2:3], 0xbff56cf1472aa3dd, v[14:15]
	s_delay_alu instid0(VALU_DEP_2) | instskip(NEXT) | instid1(VALU_DEP_2)
	v_add_f64_e32 v[4:5], 0x41548be7874a6681, v[4:5]
	v_div_scale_f64 v[6:7], null, v[2:3], v[2:3], s[12:13]
	s_delay_alu instid0(VALU_DEP_1) | instskip(SKIP_1) | instid1(TRANS32_DEP_1)
	v_rcp_f64_e32 v[48:49], v[6:7]
	v_nop
	v_fma_f64 v[50:51], -v[6:7], v[48:49], 1.0
	s_delay_alu instid0(VALU_DEP_1) | instskip(NEXT) | instid1(VALU_DEP_1)
	v_fmac_f64_e32 v[48:49], v[48:49], v[50:51]
	v_fma_f64 v[50:51], -v[6:7], v[48:49], 1.0
	s_delay_alu instid0(VALU_DEP_1) | instskip(SKIP_1) | instid1(VALU_DEP_1)
	v_fmac_f64_e32 v[48:49], v[48:49], v[50:51]
	v_div_scale_f64 v[50:51], vcc_lo, s[12:13], v[2:3], s[12:13]
	v_mul_f64_e32 v[52:53], v[50:51], v[48:49]
	s_delay_alu instid0(VALU_DEP_1) | instskip(NEXT) | instid1(VALU_DEP_1)
	v_fma_f64 v[6:7], -v[6:7], v[52:53], v[50:51]
	v_div_fmas_f64 v[6:7], v[6:7], v[48:49], v[52:53]
	s_delay_alu instid0(VALU_DEP_1) | instskip(SKIP_1) | instid1(VALU_DEP_1)
	v_div_fixup_f64 v[2:3], v[6:7], v[2:3], s[12:13]
	s_mov_b64 s[12:13], 0xbfce7385e97f996d
	v_fmac_f64_e32 v[2:3], v[4:5], v[30:31]
	v_fmaak_f64 v[4:5], s[12:13], v[14:15], 0x4032698725cefe33
	s_mov_b64 s[12:13], 0xc1e577d0c850a29c
	s_delay_alu instid0(SALU_CYCLE_1) | instskip(NEXT) | instid1(VALU_DEP_2)
	v_div_scale_f64 v[6:7], null, v[14:15], v[14:15], s[12:13]
	v_fmaak_f64 v[4:5], v[14:15], v[4:5], 0xc08f500efa23cf3d
	s_delay_alu instid0(VALU_DEP_1) | instskip(NEXT) | instid1(VALU_DEP_1)
	v_fmaak_f64 v[4:5], v[14:15], v[4:5], 0x40e25165e4a29e3b
	v_fmaak_f64 v[4:5], v[14:15], v[4:5], 0xc12d02c553a7df02
	s_delay_alu instid0(VALU_DEP_4) | instskip(SKIP_1) | instid1(TRANS32_DEP_1)
	v_rcp_f64_e32 v[48:49], v[6:7]
	v_nop
	v_fma_f64 v[50:51], -v[6:7], v[48:49], 1.0
	s_delay_alu instid0(VALU_DEP_1) | instskip(NEXT) | instid1(VALU_DEP_1)
	v_fmac_f64_e32 v[48:49], v[48:49], v[50:51]
	v_fma_f64 v[50:51], -v[6:7], v[48:49], 1.0
	s_delay_alu instid0(VALU_DEP_1) | instskip(SKIP_1) | instid1(VALU_DEP_1)
	v_fmac_f64_e32 v[48:49], v[48:49], v[50:51]
	v_div_scale_f64 v[50:51], vcc_lo, s[12:13], v[14:15], s[12:13]
	v_mul_f64_e32 v[52:53], v[50:51], v[48:49]
	s_delay_alu instid0(VALU_DEP_1) | instskip(NEXT) | instid1(VALU_DEP_1)
	v_fma_f64 v[6:7], -v[6:7], v[52:53], v[50:51]
	v_div_fmas_f64 v[6:7], v[6:7], v[48:49], v[52:53]
	s_delay_alu instid0(VALU_DEP_1) | instskip(SKIP_1) | instid1(VALU_DEP_1)
	v_div_fixup_f64 v[6:7], v[6:7], v[14:15], s[12:13]
	s_mov_b64 s[12:13], 0x400f6a6bd7175b27
	v_add_f64_e32 v[6:7], 0x41cfc6e96738fe48, v[6:7]
	s_delay_alu instid0(VALU_DEP_1) | instskip(NEXT) | instid1(VALU_DEP_1)
	v_div_scale_f64 v[48:49], null, v[14:15], v[14:15], v[6:7]
	v_rcp_f64_e32 v[50:51], v[48:49]
	v_nop
	s_delay_alu instid0(TRANS32_DEP_1) | instskip(NEXT) | instid1(VALU_DEP_1)
	v_fma_f64 v[52:53], -v[48:49], v[50:51], 1.0
	v_fmac_f64_e32 v[50:51], v[50:51], v[52:53]
	s_delay_alu instid0(VALU_DEP_1) | instskip(NEXT) | instid1(VALU_DEP_1)
	v_fma_f64 v[52:53], -v[48:49], v[50:51], 1.0
	v_fmac_f64_e32 v[50:51], v[50:51], v[52:53]
	v_div_scale_f64 v[52:53], vcc_lo, v[6:7], v[14:15], v[6:7]
	s_delay_alu instid0(VALU_DEP_1) | instskip(NEXT) | instid1(VALU_DEP_1)
	v_mul_f64_e32 v[54:55], v[52:53], v[50:51]
	v_fma_f64 v[48:49], -v[48:49], v[54:55], v[52:53]
	s_delay_alu instid0(VALU_DEP_1) | instskip(NEXT) | instid1(VALU_DEP_1)
	v_div_fmas_f64 v[48:49], v[48:49], v[50:51], v[54:55]
	v_div_fixup_f64 v[6:7], v[48:49], v[14:15], v[6:7]
	s_delay_alu instid0(VALU_DEP_1) | instskip(NEXT) | instid1(VALU_DEP_1)
	v_add_f64_e32 v[6:7], 0xc1a48f39135ff25e, v[6:7]
	v_div_scale_f64 v[48:49], null, v[14:15], v[14:15], v[6:7]
	s_delay_alu instid0(VALU_DEP_1) | instskip(SKIP_1) | instid1(TRANS32_DEP_1)
	v_rcp_f64_e32 v[50:51], v[48:49]
	v_nop
	v_fma_f64 v[52:53], -v[48:49], v[50:51], 1.0
	s_delay_alu instid0(VALU_DEP_1) | instskip(NEXT) | instid1(VALU_DEP_1)
	v_fmac_f64_e32 v[50:51], v[50:51], v[52:53]
	v_fma_f64 v[52:53], -v[48:49], v[50:51], 1.0
	s_delay_alu instid0(VALU_DEP_1) | instskip(SKIP_1) | instid1(VALU_DEP_1)
	v_fmac_f64_e32 v[50:51], v[50:51], v[52:53]
	v_div_scale_f64 v[52:53], vcc_lo, v[6:7], v[14:15], v[6:7]
	v_mul_f64_e32 v[54:55], v[52:53], v[50:51]
	s_delay_alu instid0(VALU_DEP_1) | instskip(NEXT) | instid1(VALU_DEP_1)
	v_fma_f64 v[48:49], -v[48:49], v[54:55], v[52:53]
	v_div_fmas_f64 v[48:49], v[48:49], v[50:51], v[54:55]
	s_delay_alu instid0(VALU_DEP_1) | instskip(NEXT) | instid1(VALU_DEP_1)
	v_div_fixup_f64 v[6:7], v[48:49], v[14:15], v[6:7]
	v_fmac_f64_e32 v[6:7], v[14:15], v[4:5]
	v_add_f64_e32 v[4:5], 0xc00f6a6bd7175b27, v[14:15]
	s_delay_alu instid0(VALU_DEP_2) | instskip(NEXT) | instid1(VALU_DEP_2)
	v_add_f64_e32 v[6:7], 0x416e98fa60bc7608, v[6:7]
	v_div_scale_f64 v[48:49], null, v[4:5], v[4:5], s[12:13]
	s_delay_alu instid0(VALU_DEP_1) | instskip(SKIP_1) | instid1(TRANS32_DEP_1)
	v_rcp_f64_e32 v[50:51], v[48:49]
	v_nop
	v_fma_f64 v[52:53], -v[48:49], v[50:51], 1.0
	s_delay_alu instid0(VALU_DEP_1) | instskip(NEXT) | instid1(VALU_DEP_1)
	v_fmac_f64_e32 v[50:51], v[50:51], v[52:53]
	v_fma_f64 v[52:53], -v[48:49], v[50:51], 1.0
	s_delay_alu instid0(VALU_DEP_1) | instskip(SKIP_1) | instid1(VALU_DEP_1)
	v_fmac_f64_e32 v[50:51], v[50:51], v[52:53]
	v_div_scale_f64 v[52:53], vcc_lo, s[12:13], v[4:5], s[12:13]
	v_mul_f64_e32 v[54:55], v[52:53], v[50:51]
	s_delay_alu instid0(VALU_DEP_1) | instskip(NEXT) | instid1(VALU_DEP_1)
	v_fma_f64 v[48:49], -v[48:49], v[54:55], v[52:53]
	v_div_fmas_f64 v[48:49], v[48:49], v[50:51], v[54:55]
	s_delay_alu instid0(VALU_DEP_1) | instskip(SKIP_1) | instid1(VALU_DEP_1)
	v_div_fixup_f64 v[4:5], v[48:49], v[4:5], s[12:13]
	s_mov_b64 s[12:13], 0xbf43aef75bfb2721
	v_fmac_f64_e32 v[4:5], v[6:7], v[30:31]
	v_fmaak_f64 v[6:7], s[12:13], v[14:15], 0xbfd753a203d287e7
	s_mov_b64 s[12:13], 0x4180a4fb8ea4cf22
	s_delay_alu instid0(SALU_CYCLE_1) | instskip(NEXT) | instid1(VALU_DEP_2)
	v_div_scale_f64 v[48:49], null, v[14:15], v[14:15], s[12:13]
	v_fmaak_f64 v[6:7], v[14:15], v[6:7], 0x402f7fcd4c53000c
	s_delay_alu instid0(VALU_DEP_1) | instskip(NEXT) | instid1(VALU_DEP_1)
	v_fmaak_f64 v[6:7], v[14:15], v[6:7], 0xc084778dd247dd83
	v_fmaak_f64 v[6:7], v[14:15], v[6:7], 0x40d0aec040e039ea
	s_delay_alu instid0(VALU_DEP_1) | instskip(SKIP_2) | instid1(TRANS32_DEP_1)
	v_fmaak_f64 v[6:7], v[14:15], v[6:7], 0xc111bb57c255be1a
	v_rcp_f64_e32 v[50:51], v[48:49]
	v_nop
	v_fma_f64 v[52:53], -v[48:49], v[50:51], 1.0
	s_delay_alu instid0(VALU_DEP_1) | instskip(NEXT) | instid1(VALU_DEP_1)
	v_fmac_f64_e32 v[50:51], v[50:51], v[52:53]
	v_fma_f64 v[52:53], -v[48:49], v[50:51], 1.0
	s_delay_alu instid0(VALU_DEP_1) | instskip(SKIP_1) | instid1(VALU_DEP_1)
	v_fmac_f64_e32 v[50:51], v[50:51], v[52:53]
	v_div_scale_f64 v[52:53], vcc_lo, s[12:13], v[14:15], s[12:13]
	v_mul_f64_e32 v[54:55], v[52:53], v[50:51]
	s_delay_alu instid0(VALU_DEP_1) | instskip(NEXT) | instid1(VALU_DEP_1)
	v_fma_f64 v[48:49], -v[48:49], v[54:55], v[52:53]
	v_div_fmas_f64 v[48:49], v[48:49], v[50:51], v[54:55]
	s_delay_alu instid0(VALU_DEP_1) | instskip(SKIP_1) | instid1(VALU_DEP_1)
	v_div_fixup_f64 v[48:49], v[48:49], v[14:15], s[12:13]
	s_mov_b64 s[12:13], 0x40212d61a833213e
	v_add_f64_e32 v[48:49], 0xc16f75ee88468124, v[48:49]
	s_delay_alu instid0(VALU_DEP_1) | instskip(NEXT) | instid1(VALU_DEP_1)
	v_div_scale_f64 v[50:51], null, v[14:15], v[14:15], v[48:49]
	v_rcp_f64_e32 v[52:53], v[50:51]
	v_nop
	s_delay_alu instid0(TRANS32_DEP_1) | instskip(NEXT) | instid1(VALU_DEP_1)
	v_fma_f64 v[54:55], -v[50:51], v[52:53], 1.0
	v_fmac_f64_e32 v[52:53], v[52:53], v[54:55]
	s_delay_alu instid0(VALU_DEP_1) | instskip(NEXT) | instid1(VALU_DEP_1)
	v_fma_f64 v[54:55], -v[50:51], v[52:53], 1.0
	v_fmac_f64_e32 v[52:53], v[52:53], v[54:55]
	v_div_scale_f64 v[54:55], vcc_lo, v[48:49], v[14:15], v[48:49]
	s_delay_alu instid0(VALU_DEP_1) | instskip(NEXT) | instid1(VALU_DEP_1)
	v_mul_f64_e32 v[98:99], v[54:55], v[52:53]
	v_fma_f64 v[50:51], -v[50:51], v[98:99], v[54:55]
	s_delay_alu instid0(VALU_DEP_1) | instskip(NEXT) | instid1(VALU_DEP_1)
	v_div_fmas_f64 v[50:51], v[50:51], v[52:53], v[98:99]
	v_div_fixup_f64 v[48:49], v[50:51], v[14:15], v[48:49]
	s_delay_alu instid0(VALU_DEP_1) | instskip(SKIP_1) | instid1(VALU_DEP_2)
	v_fmac_f64_e32 v[48:49], v[14:15], v[6:7]
	v_add_f64_e32 v[6:7], 0xc0212d61a833213e, v[14:15]
	v_add_f64_e32 v[48:49], 0x4146a539b3692b7d, v[48:49]
	s_delay_alu instid0(VALU_DEP_2) | instskip(NEXT) | instid1(VALU_DEP_1)
	v_div_scale_f64 v[50:51], null, v[6:7], v[6:7], s[12:13]
	v_rcp_f64_e32 v[52:53], v[50:51]
	v_nop
	s_delay_alu instid0(TRANS32_DEP_1) | instskip(NEXT) | instid1(VALU_DEP_1)
	v_fma_f64 v[54:55], -v[50:51], v[52:53], 1.0
	v_fmac_f64_e32 v[52:53], v[52:53], v[54:55]
	s_delay_alu instid0(VALU_DEP_1) | instskip(NEXT) | instid1(VALU_DEP_1)
	v_fma_f64 v[54:55], -v[50:51], v[52:53], 1.0
	v_fmac_f64_e32 v[52:53], v[52:53], v[54:55]
	v_div_scale_f64 v[54:55], vcc_lo, s[12:13], v[6:7], s[12:13]
	s_delay_alu instid0(VALU_DEP_1) | instskip(NEXT) | instid1(VALU_DEP_1)
	v_mul_f64_e32 v[98:99], v[54:55], v[52:53]
	v_fma_f64 v[50:51], -v[50:51], v[98:99], v[54:55]
	s_delay_alu instid0(VALU_DEP_1) | instskip(NEXT) | instid1(VALU_DEP_1)
	v_div_fmas_f64 v[50:51], v[50:51], v[52:53], v[98:99]
	v_div_fixup_f64 v[6:7], v[50:51], v[6:7], s[12:13]
	s_mov_b64 s[12:13], 0x3f2efc0729fd24f1
	v_fmamk_f64 v[50:51], v[18:19], 0x3f2d856f0999f3b2, v[34:35]
	v_fmaak_f64 v[34:35], s[12:13], v[14:15], 0xbf82c69873858adf
	s_mov_b64 s[12:13], 0x4188dd4bca91e703
	s_delay_alu instid0(VALU_DEP_1) | instskip(NEXT) | instid1(VALU_DEP_1)
	v_fmaak_f64 v[34:35], v[14:15], v[34:35], 0x3fdd9476ca6d13a7
	v_fmaak_f64 v[34:35], v[14:15], v[34:35], 0xc033b1c2cbc4d9e7
	s_delay_alu instid0(VALU_DEP_1) | instskip(NEXT) | instid1(VALU_DEP_1)
	v_fmaak_f64 v[34:35], v[14:15], v[34:35], 0x407f32b506205102
	v_fmaak_f64 v[34:35], v[14:15], v[34:35], 0xc0b84632ce2c4c3b
	v_fmac_f64_e32 v[6:7], v[48:49], v[30:31]
	v_div_scale_f64 v[48:49], null, v[14:15], v[14:15], s[12:13]
	s_delay_alu instid0(VALU_DEP_1) | instskip(SKIP_1) | instid1(TRANS32_DEP_1)
	v_rcp_f64_e32 v[52:53], v[48:49]
	v_nop
	v_fma_f64 v[54:55], -v[48:49], v[52:53], 1.0
	s_delay_alu instid0(VALU_DEP_1) | instskip(NEXT) | instid1(VALU_DEP_1)
	v_fmac_f64_e32 v[52:53], v[52:53], v[54:55]
	v_fma_f64 v[54:55], -v[48:49], v[52:53], 1.0
	s_delay_alu instid0(VALU_DEP_1) | instskip(SKIP_1) | instid1(VALU_DEP_1)
	v_fmac_f64_e32 v[52:53], v[52:53], v[54:55]
	v_div_scale_f64 v[54:55], vcc_lo, s[12:13], v[14:15], s[12:13]
	v_mul_f64_e32 v[98:99], v[54:55], v[52:53]
	s_delay_alu instid0(VALU_DEP_1) | instskip(NEXT) | instid1(VALU_DEP_1)
	v_fma_f64 v[48:49], -v[48:49], v[98:99], v[54:55]
	v_div_fmas_f64 v[48:49], v[48:49], v[52:53], v[98:99]
	s_delay_alu instid0(VALU_DEP_1) | instskip(SKIP_1) | instid1(VALU_DEP_1)
	v_div_fixup_f64 v[48:49], v[48:49], v[14:15], s[12:13]
	s_mov_b64 s[12:13], 0x3f47ea5b6fb3601f
	v_add_f64_e32 v[48:49], 0xc16994824e0bb8d1, v[48:49]
	s_delay_alu instid0(VALU_DEP_1) | instskip(NEXT) | instid1(VALU_DEP_1)
	v_div_scale_f64 v[52:53], null, v[14:15], v[14:15], v[48:49]
	v_rcp_f64_e32 v[54:55], v[52:53]
	v_nop
	s_delay_alu instid0(TRANS32_DEP_1) | instskip(NEXT) | instid1(VALU_DEP_1)
	v_fma_f64 v[98:99], -v[52:53], v[54:55], 1.0
	v_fmac_f64_e32 v[54:55], v[54:55], v[98:99]
	s_delay_alu instid0(VALU_DEP_1) | instskip(NEXT) | instid1(VALU_DEP_1)
	v_fma_f64 v[98:99], -v[52:53], v[54:55], 1.0
	v_fmac_f64_e32 v[54:55], v[54:55], v[98:99]
	v_div_scale_f64 v[98:99], vcc_lo, v[48:49], v[14:15], v[48:49]
	s_delay_alu instid0(VALU_DEP_1) | instskip(NEXT) | instid1(VALU_DEP_1)
	v_mul_f64_e32 v[100:101], v[98:99], v[54:55]
	v_fma_f64 v[52:53], -v[52:53], v[100:101], v[98:99]
	s_delay_alu instid0(VALU_DEP_1) | instskip(NEXT) | instid1(VALU_DEP_1)
	v_div_fmas_f64 v[52:53], v[52:53], v[54:55], v[100:101]
	v_div_fixup_f64 v[48:49], v[52:53], v[14:15], v[48:49]
	s_delay_alu instid0(VALU_DEP_1) | instskip(NEXT) | instid1(VALU_DEP_1)
	v_add_f64_e32 v[48:49], 0x4131585cfba9940e, v[48:49]
	v_div_scale_f64 v[52:53], null, v[14:15], v[14:15], v[48:49]
	s_delay_alu instid0(VALU_DEP_1) | instskip(SKIP_1) | instid1(TRANS32_DEP_1)
	v_rcp_f64_e32 v[54:55], v[52:53]
	v_nop
	v_fma_f64 v[98:99], -v[52:53], v[54:55], 1.0
	s_delay_alu instid0(VALU_DEP_1) | instskip(NEXT) | instid1(VALU_DEP_1)
	v_fmac_f64_e32 v[54:55], v[54:55], v[98:99]
	v_fma_f64 v[98:99], -v[52:53], v[54:55], 1.0
	s_delay_alu instid0(VALU_DEP_1) | instskip(SKIP_1) | instid1(VALU_DEP_1)
	v_fmac_f64_e32 v[54:55], v[54:55], v[98:99]
	v_div_scale_f64 v[98:99], vcc_lo, v[48:49], v[14:15], v[48:49]
	v_mul_f64_e32 v[100:101], v[98:99], v[54:55]
	s_delay_alu instid0(VALU_DEP_1) | instskip(NEXT) | instid1(VALU_DEP_1)
	v_fma_f64 v[52:53], -v[52:53], v[100:101], v[98:99]
	v_div_fmas_f64 v[52:53], v[52:53], v[54:55], v[100:101]
	s_delay_alu instid0(VALU_DEP_1) | instskip(NEXT) | instid1(VALU_DEP_1)
	v_div_fixup_f64 v[48:49], v[52:53], v[14:15], v[48:49]
	v_fmac_f64_e32 v[48:49], v[14:15], v[34:35]
	s_delay_alu instid0(VALU_DEP_1) | instskip(NEXT) | instid1(VALU_DEP_1)
	v_add_f64_e32 v[34:35], 0xc0a5fe060d53b761, v[48:49]
	v_mul_f64_e32 v[34:35], v[34:35], v[30:31]
	s_delay_alu instid0(VALU_DEP_1) | instskip(SKIP_2) | instid1(SALU_CYCLE_1)
	v_fmamk_f64 v[48:49], v[18:19], 0x3f93bba15a77e739, v[34:35]
	v_fmaak_f64 v[34:35], s[12:13], v[14:15], 0xbfa21ea1db9a5984
	s_mov_b64 s[12:13], 0x416d82bf940c38be
	v_div_scale_f64 v[52:53], null, v[14:15], v[14:15], s[12:13]
	s_delay_alu instid0(VALU_DEP_2) | instskip(NEXT) | instid1(VALU_DEP_1)
	v_fmaak_f64 v[34:35], v[14:15], v[34:35], 0x40009fb0f7a451f9
	v_fmaak_f64 v[34:35], v[14:15], v[34:35], 0xc0591dbdce1d8ef7
	s_delay_alu instid0(VALU_DEP_1) | instskip(NEXT) | instid1(VALU_DEP_1)
	v_fmaak_f64 v[34:35], v[14:15], v[34:35], 0x40a8a01f470740f5
	v_fmaak_f64 v[34:35], v[14:15], v[34:35], 0xc0ee9e2f169a0b7e
	v_rcp_f64_e32 v[54:55], v[52:53]
	v_nop
	s_delay_alu instid0(TRANS32_DEP_1) | instskip(NEXT) | instid1(VALU_DEP_1)
	v_fma_f64 v[98:99], -v[52:53], v[54:55], 1.0
	v_fmac_f64_e32 v[54:55], v[54:55], v[98:99]
	s_delay_alu instid0(VALU_DEP_1) | instskip(NEXT) | instid1(VALU_DEP_1)
	v_fma_f64 v[98:99], -v[52:53], v[54:55], 1.0
	v_fmac_f64_e32 v[54:55], v[54:55], v[98:99]
	v_div_scale_f64 v[98:99], vcc_lo, s[12:13], v[14:15], s[12:13]
	s_delay_alu instid0(VALU_DEP_1) | instskip(NEXT) | instid1(VALU_DEP_1)
	v_mul_f64_e32 v[100:101], v[98:99], v[54:55]
	v_fma_f64 v[52:53], -v[52:53], v[100:101], v[98:99]
	s_delay_alu instid0(VALU_DEP_1) | instskip(NEXT) | instid1(VALU_DEP_1)
	v_div_fmas_f64 v[52:53], v[52:53], v[54:55], v[100:101]
	v_div_fixup_f64 v[52:53], v[52:53], v[14:15], s[12:13]
	s_mov_b64 s[12:13], 0x3fc91e26b4d0174d
	s_delay_alu instid0(VALU_DEP_1) | instskip(NEXT) | instid1(VALU_DEP_1)
	v_add_f64_e32 v[52:53], 0xc1541171fa71469f, v[52:53]
	v_div_scale_f64 v[54:55], null, v[14:15], v[14:15], v[52:53]
	s_delay_alu instid0(VALU_DEP_1) | instskip(SKIP_1) | instid1(TRANS32_DEP_1)
	v_rcp_f64_e32 v[98:99], v[54:55]
	v_nop
	v_fma_f64 v[100:101], -v[54:55], v[98:99], 1.0
	s_delay_alu instid0(VALU_DEP_1) | instskip(NEXT) | instid1(VALU_DEP_1)
	v_fmac_f64_e32 v[98:99], v[98:99], v[100:101]
	v_fma_f64 v[100:101], -v[54:55], v[98:99], 1.0
	s_delay_alu instid0(VALU_DEP_1) | instskip(SKIP_1) | instid1(VALU_DEP_1)
	v_fmac_f64_e32 v[98:99], v[98:99], v[100:101]
	v_div_scale_f64 v[100:101], vcc_lo, v[52:53], v[14:15], v[52:53]
	v_mul_f64_e32 v[102:103], v[100:101], v[98:99]
	s_delay_alu instid0(VALU_DEP_1) | instskip(NEXT) | instid1(VALU_DEP_1)
	v_fma_f64 v[54:55], -v[54:55], v[102:103], v[100:101]
	v_div_fmas_f64 v[54:55], v[54:55], v[98:99], v[102:103]
	s_delay_alu instid0(VALU_DEP_1) | instskip(NEXT) | instid1(VALU_DEP_1)
	v_div_fixup_f64 v[52:53], v[54:55], v[14:15], v[52:53]
	v_fmac_f64_e32 v[52:53], v[14:15], v[34:35]
	s_delay_alu instid0(VALU_DEP_1) | instskip(NEXT) | instid1(VALU_DEP_1)
	v_add_f64_e32 v[34:35], 0x4127693ecd4be3bf, v[52:53]
	v_mul_f64_e32 v[34:35], v[34:35], v[30:31]
	s_delay_alu instid0(VALU_DEP_1) | instskip(SKIP_1) | instid1(VALU_DEP_1)
	v_fmamk_f64 v[54:55], v[18:19], 0x3fce036f41317cef, v[34:35]
	v_div_scale_f64 v[34:35], null, v[14:15], v[14:15], s[12:13]
	v_rcp_f64_e32 v[52:53], v[34:35]
	v_nop
	s_delay_alu instid0(TRANS32_DEP_1) | instskip(NEXT) | instid1(VALU_DEP_1)
	v_fma_f64 v[98:99], -v[34:35], v[52:53], 1.0
	v_fmac_f64_e32 v[52:53], v[52:53], v[98:99]
	s_delay_alu instid0(VALU_DEP_1) | instskip(NEXT) | instid1(VALU_DEP_1)
	v_fma_f64 v[98:99], -v[34:35], v[52:53], 1.0
	v_fmac_f64_e32 v[52:53], v[52:53], v[98:99]
	v_div_scale_f64 v[98:99], vcc_lo, s[12:13], v[14:15], s[12:13]
	s_delay_alu instid0(VALU_DEP_1) | instskip(NEXT) | instid1(VALU_DEP_1)
	v_mul_f64_e32 v[100:101], v[98:99], v[52:53]
	v_fma_f64 v[34:35], -v[34:35], v[100:101], v[98:99]
	s_delay_alu instid0(VALU_DEP_1) | instskip(NEXT) | instid1(VALU_DEP_1)
	v_div_fmas_f64 v[34:35], v[34:35], v[52:53], v[100:101]
	v_div_fixup_f64 v[34:35], v[34:35], v[14:15], s[12:13]
	s_delay_alu instid0(VALU_DEP_1) | instskip(NEXT) | instid1(VALU_DEP_1)
	v_add_f64_e32 v[34:35], 0xbfdfce1180245b5f, v[34:35]
	v_div_scale_f64 v[98:99], null, v[14:15], v[14:15], v[34:35]
	s_delay_alu instid0(VALU_DEP_1) | instskip(SKIP_1) | instid1(TRANS32_DEP_1)
	v_rcp_f64_e32 v[52:53], v[98:99]
	v_nop
	v_fma_f64 v[100:101], -v[98:99], v[52:53], 1.0
	s_delay_alu instid0(VALU_DEP_1) | instskip(NEXT) | instid1(VALU_DEP_1)
	v_fmac_f64_e32 v[52:53], v[52:53], v[100:101]
	v_fma_f64 v[100:101], -v[98:99], v[52:53], 1.0
	s_delay_alu instid0(VALU_DEP_1) | instskip(SKIP_1) | instid1(VALU_DEP_1)
	v_fmac_f64_e32 v[52:53], v[52:53], v[100:101]
	v_div_scale_f64 v[100:101], vcc_lo, v[34:35], v[14:15], v[34:35]
	v_mul_f64_e32 v[102:103], v[100:101], v[52:53]
	s_delay_alu instid0(VALU_DEP_1) | instskip(NEXT) | instid1(VALU_DEP_1)
	v_fma_f64 v[98:99], -v[98:99], v[102:103], v[100:101]
	v_div_fmas_f64 v[52:53], v[98:99], v[52:53], v[102:103]
	s_delay_alu instid0(VALU_DEP_1) | instskip(NEXT) | instid1(VALU_DEP_1)
	v_div_fixup_f64 v[14:15], v[52:53], v[14:15], v[34:35]
	v_add_f64_e32 v[14:15], 0xbf0f8a146403a8cf, v[14:15]
	s_delay_alu instid0(VALU_DEP_1) | instskip(NEXT) | instid1(VALU_DEP_1)
	v_fmac_f64_e32 v[18:19], v[14:15], v[30:31]
	v_add_f64_e64 v[14:15], v[18:19], -v[54:55]
	s_delay_alu instid0(VALU_DEP_1) | instskip(NEXT) | instid1(VALU_DEP_1)
	v_add_f64_e64 v[14:15], v[14:15], -v[48:49]
	v_add_f64_e64 v[52:53], v[14:15], -v[50:51]
                                        ; implicit-def: $vgpr14_vgpr15
.LBB0_67:
	s_and_not1_saveexec_b32 s12, s0
	s_cbranch_execz .LBB0_73
; %bb.68:
	s_mov_b64 s[0:1], 0x3fe921fb54442d15
                                        ; implicit-def: $vgpr50_vgpr51
                                        ; implicit-def: $vgpr54_vgpr55
	s_delay_alu instid0(SALU_CYCLE_1) | instskip(SKIP_1) | instid1(VALU_DEP_2)
	v_div_scale_f64 v[0:1], null, v[14:15], v[14:15], s[0:1]
	v_div_scale_f64 v[6:7], vcc_lo, s[0:1], v[14:15], s[0:1]
	v_rcp_f64_e32 v[2:3], v[0:1]
	v_nop
	s_delay_alu instid0(TRANS32_DEP_1) | instskip(NEXT) | instid1(VALU_DEP_1)
	v_fma_f64 v[4:5], -v[0:1], v[2:3], 1.0
	v_fmac_f64_e32 v[2:3], v[2:3], v[4:5]
	s_delay_alu instid0(VALU_DEP_1) | instskip(NEXT) | instid1(VALU_DEP_1)
	v_fma_f64 v[4:5], -v[0:1], v[2:3], 1.0
	v_fmac_f64_e32 v[2:3], v[2:3], v[4:5]
	s_delay_alu instid0(VALU_DEP_1) | instskip(NEXT) | instid1(VALU_DEP_1)
	v_mul_f64_e32 v[4:5], v[6:7], v[2:3]
	v_fma_f64 v[0:1], -v[0:1], v[4:5], v[6:7]
	s_delay_alu instid0(VALU_DEP_1) | instskip(NEXT) | instid1(VALU_DEP_1)
	v_div_fmas_f64 v[0:1], v[0:1], v[2:3], v[4:5]
	v_div_fixup_f64 v[0:1], v[0:1], v[14:15], s[0:1]
	s_mov_b32 s1, exec_lo
	s_delay_alu instid0(VALU_DEP_1) | instskip(SKIP_1) | instid1(VALU_DEP_1)
	v_cmp_gt_f64_e32 vcc_lo, 0x10000000, v[0:1]
	v_cndmask_b32_e64 v2, 0, 0x100, vcc_lo
	v_ldexp_f64 v[0:1], v[0:1], v2
	s_delay_alu instid0(VALU_DEP_1) | instskip(SKIP_1) | instid1(TRANS32_DEP_1)
	v_rsq_f64_e32 v[2:3], v[0:1]
	v_nop
	v_mul_f64_e32 v[4:5], v[0:1], v[2:3]
	v_mul_f64_e32 v[2:3], 0.5, v[2:3]
	s_delay_alu instid0(VALU_DEP_1) | instskip(NEXT) | instid1(VALU_DEP_1)
	v_fma_f64 v[6:7], -v[2:3], v[4:5], 0.5
	v_fmac_f64_e32 v[4:5], v[4:5], v[6:7]
	v_fmac_f64_e32 v[2:3], v[2:3], v[6:7]
	s_delay_alu instid0(VALU_DEP_2) | instskip(NEXT) | instid1(VALU_DEP_1)
	v_fma_f64 v[6:7], -v[4:5], v[4:5], v[0:1]
	v_fmac_f64_e32 v[4:5], v[6:7], v[2:3]
	s_delay_alu instid0(VALU_DEP_1) | instskip(NEXT) | instid1(VALU_DEP_1)
	v_fma_f64 v[6:7], -v[4:5], v[4:5], v[0:1]
	v_fmac_f64_e32 v[4:5], v[6:7], v[2:3]
	v_cndmask_b32_e64 v2, 0, 0xffffff80, vcc_lo
	v_cmp_class_f64_e64 vcc_lo, v[0:1], 0x260
	s_delay_alu instid0(VALU_DEP_2) | instskip(NEXT) | instid1(VALU_DEP_1)
	v_ldexp_f64 v[2:3], v[4:5], v2
                                        ; implicit-def: $vgpr6_vgpr7
	v_dual_cndmask_b32 v19, v3, v1 :: v_dual_cndmask_b32 v18, v2, v0
                                        ; implicit-def: $vgpr2_vgpr3
	v_cmpx_ge_f64_e32 0x404a8000, v[14:15]
	s_xor_b32 s2, exec_lo, s1
	s_cbranch_execz .LBB0_70
; %bb.69:
	v_mul_f64_e32 v[0:1], 0xbff71547652b82fe, v[14:15]
	s_mov_b64 s[0:1], 0xbfe62e42fefa39ef
	v_mov_b64_e32 v[54:55], 0x3e928af3fca7ab0c
	v_cmp_eq_f64_e32 vcc_lo, 1.0, v[14:15]
	v_frexp_exp_i32_f64_e32 v102, v[14:15]
	v_mov_b64_e32 v[52:53], 0x3ec71dee623fde64
	v_mov_b64_e32 v[50:51], 0x3efa01997c89e6b0
	;; [unrolled: 1-line block ×4, first 2 shown]
	v_rndne_f64_e32 v[0:1], v[0:1]
	s_delay_alu instid0(VALU_DEP_1) | instskip(SKIP_1) | instid1(VALU_DEP_1)
	v_fma_f64 v[98:99], v[0:1], s[0:1], -v[14:15]
	s_mov_b64 s[0:1], 0x3fe5555555555555
	v_fmac_f64_e32 v[98:99], 0xbc7abc9e3b39803f, v[0:1]
	v_cvt_i32_f64_e32 v0, v[0:1]
	s_delay_alu instid0(VALU_DEP_2) | instskip(NEXT) | instid1(VALU_DEP_1)
	v_fmamk_f64 v[2:3], v[98:99], 0x3e5ade156a5dcb37, v[54:55]
	v_fmaak_f64 v[2:3], v[98:99], v[2:3], 0x3ec71dee623fde64
	s_delay_alu instid0(VALU_DEP_1) | instskip(NEXT) | instid1(VALU_DEP_1)
	v_fmaak_f64 v[2:3], v[98:99], v[2:3], 0x3efa01997c89e6b0
	v_fmaak_f64 v[2:3], v[98:99], v[2:3], 0x3f2a01a014761f6e
	s_delay_alu instid0(VALU_DEP_1) | instskip(SKIP_1) | instid1(VALU_DEP_2)
	v_fmaak_f64 v[4:5], v[98:99], v[2:3], 0x3f56c16c1852b7b0
	v_mov_b64_e32 v[2:3], 0x3f81111111122322
	v_fmaak_f64 v[6:7], v[98:99], v[4:5], 0x3f81111111122322
	v_mov_b64_e32 v[4:5], 0x3fa55555555502a1
	s_delay_alu instid0(VALU_DEP_2) | instskip(SKIP_1) | instid1(VALU_DEP_2)
	v_fmaak_f64 v[30:31], v[98:99], v[6:7], 0x3fa55555555502a1
	v_mov_b64_e32 v[6:7], 0x3fc5555555555511
	v_fmaak_f64 v[100:101], v[98:99], v[30:31], 0x3fc5555555555511
	v_mov_b64_e32 v[30:31], 0x3fe000000000000b
	s_delay_alu instid0(VALU_DEP_2) | instskip(NEXT) | instid1(VALU_DEP_1)
	v_fmaak_f64 v[100:101], v[98:99], v[100:101], 0x3fe000000000000b
	v_fma_f64 v[100:101], v[98:99], v[100:101], 1.0
	s_delay_alu instid0(VALU_DEP_1) | instskip(SKIP_1) | instid1(VALU_DEP_2)
	v_fma_f64 v[98:99], v[98:99], v[100:101], 1.0
	v_frexp_mant_f64_e32 v[100:101], v[14:15]
	v_ldexp_f64 v[0:1], v[98:99], v0
	v_mov_b32_e32 v98, 0x3ff00000
	s_delay_alu instid0(VALU_DEP_1) | instskip(NEXT) | instid1(VALU_DEP_4)
	v_dual_cndmask_b32 v99, 0x40100000, v98 :: v_dual_mov_b32 v98, 0
	v_cmp_gt_f64_e32 vcc_lo, s[0:1], v[100:101]
	s_mov_b64 s[0:1], 0x3fbdee674222de17
	v_cndmask_b32_e64 v103, 0, 1, vcc_lo
	v_subrev_co_ci_u32_e64 v44, null, 0, v102, vcc_lo
	s_delay_alu instid0(VALU_DEP_2) | instskip(NEXT) | instid1(VALU_DEP_1)
	v_ldexp_f64 v[100:101], v[100:101], v103
	v_add_f64_e32 v[112:113], 1.0, v[100:101]
	v_add_f64_e32 v[102:103], -1.0, v[100:101]
	s_delay_alu instid0(VALU_DEP_2) | instskip(NEXT) | instid1(VALU_DEP_1)
	v_add_f64_e32 v[114:115], -1.0, v[112:113]
	v_add_f64_e64 v[100:101], v[100:101], -v[114:115]
	v_rcp_f64_e32 v[114:115], v[112:113]
	v_nop
	s_delay_alu instid0(TRANS32_DEP_1) | instskip(NEXT) | instid1(VALU_DEP_1)
	v_fma_f64 v[60:61], -v[112:113], v[114:115], 1.0
	v_fmac_f64_e32 v[114:115], v[60:61], v[114:115]
	s_delay_alu instid0(VALU_DEP_1) | instskip(NEXT) | instid1(VALU_DEP_1)
	v_fma_f64 v[60:61], -v[112:113], v[114:115], 1.0
	v_fmac_f64_e32 v[114:115], v[60:61], v[114:115]
	s_delay_alu instid0(VALU_DEP_1) | instskip(NEXT) | instid1(VALU_DEP_1)
	v_mul_f64_e32 v[60:61], v[102:103], v[114:115]
	v_mul_f64_e32 v[62:63], v[112:113], v[60:61]
	s_delay_alu instid0(VALU_DEP_1) | instskip(NEXT) | instid1(VALU_DEP_1)
	v_fma_f64 v[112:113], v[60:61], v[112:113], -v[62:63]
	v_fmac_f64_e32 v[112:113], v[60:61], v[100:101]
	s_delay_alu instid0(VALU_DEP_1) | instskip(NEXT) | instid1(VALU_DEP_1)
	v_add_f64_e32 v[100:101], v[62:63], v[112:113]
	v_add_f64_e64 v[72:73], v[102:103], -v[100:101]
	v_add_f64_e64 v[62:63], v[100:101], -v[62:63]
	s_delay_alu instid0(VALU_DEP_2) | instskip(NEXT) | instid1(VALU_DEP_1)
	v_add_f64_e64 v[102:103], v[102:103], -v[72:73]
	v_add_f64_e64 v[100:101], v[102:103], -v[100:101]
	s_delay_alu instid0(VALU_DEP_3) | instskip(NEXT) | instid1(VALU_DEP_1)
	v_add_f64_e64 v[102:103], v[62:63], -v[112:113]
	v_add_f64_e32 v[100:101], v[102:103], v[100:101]
	s_delay_alu instid0(VALU_DEP_1) | instskip(NEXT) | instid1(VALU_DEP_1)
	v_add_f64_e32 v[100:101], v[72:73], v[100:101]
	v_mul_f64_e32 v[100:101], v[114:115], v[100:101]
	s_delay_alu instid0(VALU_DEP_1) | instskip(NEXT) | instid1(VALU_DEP_1)
	v_add_f64_e32 v[62:63], v[60:61], v[100:101]
	v_add_f64_e64 v[102:103], v[62:63], -v[60:61]
	v_ldexp_f64 v[114:115], v[62:63], 1
	s_delay_alu instid0(VALU_DEP_2) | instskip(SKIP_1) | instid1(VALU_DEP_2)
	v_add_f64_e64 v[60:61], v[100:101], -v[102:103]
	v_mul_f64_e32 v[100:101], v[62:63], v[62:63]
	v_add_f64_e32 v[112:113], v[60:61], v[60:61]
	s_delay_alu instid0(VALU_DEP_2) | instskip(NEXT) | instid1(VALU_DEP_1)
	v_fma_f64 v[102:103], v[62:63], v[62:63], -v[100:101]
	v_fmac_f64_e32 v[102:103], v[62:63], v[112:113]
	s_delay_alu instid0(VALU_DEP_1) | instskip(NEXT) | instid1(VALU_DEP_1)
	v_add_f64_e32 v[72:73], v[100:101], v[102:103]
	v_add_f64_e64 v[100:101], v[72:73], -v[100:101]
	v_mul_f64_e32 v[78:79], v[62:63], v[72:73]
	s_delay_alu instid0(VALU_DEP_2) | instskip(SKIP_2) | instid1(VALU_DEP_3)
	v_add_f64_e64 v[74:75], v[102:103], -v[100:101]
	v_fmaak_f64 v[100:101], s[0:1], v[72:73], 0x3fba6564968915a9
	s_mov_b64 s[0:1], 0x3fe62e42fefa39ef
	v_fma_f64 v[88:89], v[72:73], v[62:63], -v[78:79]
	s_delay_alu instid0(VALU_DEP_2) | instskip(NEXT) | instid1(VALU_DEP_1)
	v_fmaak_f64 v[100:101], v[72:73], v[100:101], 0x3fbe25e43abe935a
	v_fmaak_f64 v[100:101], v[72:73], v[100:101], 0x3fc110ef47e6c9c2
	s_delay_alu instid0(VALU_DEP_1) | instskip(NEXT) | instid1(VALU_DEP_1)
	v_fmaak_f64 v[100:101], v[72:73], v[100:101], 0x3fc3b13bcfa74449
	v_fmaak_f64 v[100:101], v[72:73], v[100:101], 0x3fc745d171bf3c30
	v_fmac_f64_e32 v[88:89], v[72:73], v[60:61]
	s_delay_alu instid0(VALU_DEP_2) | instskip(NEXT) | instid1(VALU_DEP_1)
	v_fmaak_f64 v[100:101], v[72:73], v[100:101], 0x3fcc71c71c7792ce
	v_fmaak_f64 v[100:101], v[72:73], v[100:101], 0x3fd24924924920da
	s_delay_alu instid0(VALU_DEP_1) | instskip(SKIP_2) | instid1(VALU_DEP_2)
	v_fmaak_f64 v[76:77], v[72:73], v[100:101], 0x3fd999999999999c
	v_cvt_f64_i32_e32 v[100:101], v44
	v_fmac_f64_e32 v[88:89], v[74:75], v[62:63]
	v_mul_f64_e32 v[112:113], 0x3fe62e42fefa39ef, v[100:101]
	s_delay_alu instid0(VALU_DEP_1) | instskip(NEXT) | instid1(VALU_DEP_1)
	v_fma_f64 v[102:103], v[100:101], s[0:1], -v[112:113]
	v_fmamk_f64 v[100:101], v[100:101], 0x3c7abc9e3b39803f, v[102:103]
	s_delay_alu instid0(VALU_DEP_1) | instskip(NEXT) | instid1(VALU_DEP_1)
	v_add_f64_e32 v[102:103], v[112:113], v[100:101]
	v_add_f64_e64 v[112:113], v[102:103], -v[112:113]
	s_delay_alu instid0(VALU_DEP_1) | instskip(SKIP_2) | instid1(VALU_DEP_1)
	v_add_f64_e64 v[100:101], v[100:101], -v[112:113]
	v_ldexp_f64 v[112:113], v[60:61], 1
	v_add_f64_e32 v[60:61], v[78:79], v[88:89]
	v_add_f64_e64 v[62:63], v[60:61], -v[78:79]
	v_mul_f64_e32 v[78:79], v[72:73], v[76:77]
	s_delay_alu instid0(VALU_DEP_2) | instskip(NEXT) | instid1(VALU_DEP_2)
	v_add_f64_e64 v[62:63], v[88:89], -v[62:63]
	v_fma_f64 v[72:73], v[72:73], v[76:77], -v[78:79]
	s_delay_alu instid0(VALU_DEP_1) | instskip(NEXT) | instid1(VALU_DEP_1)
	v_fmac_f64_e32 v[72:73], v[74:75], v[76:77]
	v_add_f64_e32 v[74:75], v[78:79], v[72:73]
	s_delay_alu instid0(VALU_DEP_1) | instskip(NEXT) | instid1(VALU_DEP_1)
	v_add_f64_e64 v[76:77], v[74:75], -v[78:79]
	v_add_f64_e64 v[72:73], v[72:73], -v[76:77]
	v_add_f64_e32 v[76:77], 0x3fe5555555555555, v[74:75]
	s_delay_alu instid0(VALU_DEP_2) | instskip(NEXT) | instid1(VALU_DEP_2)
	v_add_f64_e32 v[72:73], 0x3c8543b0d5df274d, v[72:73]
	v_add_f64_e32 v[78:79], 0xbfe5555555555555, v[76:77]
	s_delay_alu instid0(VALU_DEP_1) | instskip(NEXT) | instid1(VALU_DEP_1)
	v_add_f64_e64 v[74:75], v[74:75], -v[78:79]
	v_add_f64_e32 v[72:73], v[72:73], v[74:75]
	s_delay_alu instid0(VALU_DEP_1) | instskip(NEXT) | instid1(VALU_DEP_1)
	v_add_f64_e32 v[74:75], v[76:77], v[72:73]
	v_add_f64_e64 v[76:77], v[76:77], -v[74:75]
	s_delay_alu instid0(VALU_DEP_1) | instskip(SKIP_1) | instid1(VALU_DEP_1)
	v_add_f64_e32 v[72:73], v[72:73], v[76:77]
	v_mul_f64_e32 v[76:77], v[60:61], v[74:75]
	v_fma_f64 v[78:79], v[60:61], v[74:75], -v[76:77]
	s_delay_alu instid0(VALU_DEP_1) | instskip(NEXT) | instid1(VALU_DEP_1)
	v_fmac_f64_e32 v[78:79], v[60:61], v[72:73]
	v_fmac_f64_e32 v[78:79], v[62:63], v[74:75]
	s_delay_alu instid0(VALU_DEP_1) | instskip(NEXT) | instid1(VALU_DEP_1)
	v_add_f64_e32 v[60:61], v[76:77], v[78:79]
	v_add_f64_e64 v[62:63], v[60:61], -v[76:77]
	v_add_f64_e32 v[72:73], v[114:115], v[60:61]
	s_delay_alu instid0(VALU_DEP_2) | instskip(NEXT) | instid1(VALU_DEP_2)
	v_add_f64_e64 v[62:63], v[78:79], -v[62:63]
	v_add_f64_e64 v[114:115], v[72:73], -v[114:115]
	s_delay_alu instid0(VALU_DEP_2) | instskip(NEXT) | instid1(VALU_DEP_2)
	v_add_f64_e32 v[112:113], v[112:113], v[62:63]
	v_add_f64_e64 v[114:115], v[60:61], -v[114:115]
	s_delay_alu instid0(VALU_DEP_1) | instskip(NEXT) | instid1(VALU_DEP_1)
	v_add_f64_e32 v[112:113], v[112:113], v[114:115]
	v_add_f64_e32 v[114:115], v[72:73], v[112:113]
	s_delay_alu instid0(VALU_DEP_1) | instskip(NEXT) | instid1(VALU_DEP_1)
	v_add_f64_e64 v[60:61], v[114:115], -v[72:73]
	v_add_f64_e64 v[112:113], v[112:113], -v[60:61]
	v_add_f64_e32 v[60:61], v[102:103], v[114:115]
	s_delay_alu instid0(VALU_DEP_1) | instskip(NEXT) | instid1(VALU_DEP_1)
	v_add_f64_e64 v[62:63], v[60:61], -v[102:103]
	v_add_f64_e64 v[72:73], v[60:61], -v[62:63]
	;; [unrolled: 1-line block ×3, first 2 shown]
	s_delay_alu instid0(VALU_DEP_2) | instskip(NEXT) | instid1(VALU_DEP_1)
	v_add_f64_e64 v[102:103], v[102:103], -v[72:73]
	v_add_f64_e32 v[102:103], v[114:115], v[102:103]
	v_add_f64_e32 v[114:115], v[100:101], v[112:113]
	s_delay_alu instid0(VALU_DEP_1) | instskip(NEXT) | instid1(VALU_DEP_3)
	v_add_f64_e64 v[62:63], v[114:115], -v[100:101]
	v_add_f64_e32 v[102:103], v[114:115], v[102:103]
	s_delay_alu instid0(VALU_DEP_2) | instskip(SKIP_1) | instid1(VALU_DEP_2)
	v_add_f64_e64 v[72:73], v[114:115], -v[62:63]
	v_add_f64_e64 v[112:113], v[112:113], -v[62:63]
	;; [unrolled: 1-line block ×3, first 2 shown]
	s_delay_alu instid0(VALU_DEP_1) | instskip(SKIP_1) | instid1(VALU_DEP_1)
	v_add_f64_e32 v[100:101], v[112:113], v[100:101]
	v_add_f64_e32 v[112:113], v[60:61], v[102:103]
	v_add_f64_e64 v[114:115], v[112:113], -v[60:61]
	s_delay_alu instid0(VALU_DEP_1) | instskip(NEXT) | instid1(VALU_DEP_1)
	v_add_f64_e64 v[102:103], v[102:103], -v[114:115]
	v_add_f64_e32 v[100:101], v[100:101], v[102:103]
	s_delay_alu instid0(VALU_DEP_1) | instskip(NEXT) | instid1(VALU_DEP_1)
	v_add_f64_e32 v[102:103], v[112:113], v[100:101]
	v_add_f64_e64 v[112:113], v[102:103], -v[112:113]
	s_delay_alu instid0(VALU_DEP_1) | instskip(SKIP_1) | instid1(VALU_DEP_1)
	v_add_f64_e64 v[100:101], v[100:101], -v[112:113]
	v_mul_f64_e32 v[112:113], v[98:99], v[102:103]
	v_fma_f64 v[102:103], v[98:99], v[102:103], -v[112:113]
	v_cmp_class_f64_e64 vcc_lo, v[112:113], 0x204
	s_delay_alu instid0(VALU_DEP_2) | instskip(NEXT) | instid1(VALU_DEP_1)
	v_fmac_f64_e32 v[102:103], v[98:99], v[100:101]
	v_add_f64_e32 v[98:99], v[112:113], v[102:103]
	s_delay_alu instid0(VALU_DEP_1) | instskip(SKIP_1) | instid1(VALU_DEP_1)
	v_add_f64_e64 v[100:101], v[98:99], -v[112:113]
	v_dual_cndmask_b32 v99, v99, v113 :: v_dual_cndmask_b32 v98, v98, v112
	v_cmp_neq_f64_e64 vcc_lo, 0x7ff00000, |v[98:99]|
	v_cmp_ngt_f64_e64 s0, 0xc090cc00, v[98:99]
	s_delay_alu instid0(VALU_DEP_4) | instskip(SKIP_1) | instid1(VALU_DEP_2)
	v_add_f64_e64 v[100:101], v[102:103], -v[100:101]
	v_mul_f64_e32 v[102:103], 0x3ff71547652b82fe, v[98:99]
	v_cndmask_b32_e32 v101, 0, v101, vcc_lo
	s_delay_alu instid0(VALU_DEP_2) | instskip(NEXT) | instid1(VALU_DEP_4)
	v_rndne_f64_e32 v[102:103], v[102:103]
	v_cndmask_b32_e32 v100, 0, v100, vcc_lo
	v_cmp_nlt_f64_e32 vcc_lo, 0x40900000, v[98:99]
	s_delay_alu instid0(VALU_DEP_3) | instskip(NEXT) | instid1(VALU_DEP_1)
	v_fmamk_f64 v[112:113], v[102:103], 0xbfe62e42fefa39ef, v[98:99]
	v_fmac_f64_e32 v[112:113], 0xbc7abc9e3b39803f, v[102:103]
	s_delay_alu instid0(VALU_DEP_1) | instskip(NEXT) | instid1(VALU_DEP_1)
	v_fmac_f64_e32 v[54:55], 0x3e5ade156a5dcb37, v[112:113]
	v_fmac_f64_e32 v[52:53], v[112:113], v[54:55]
	s_delay_alu instid0(VALU_DEP_1) | instskip(NEXT) | instid1(VALU_DEP_1)
	v_fmac_f64_e32 v[50:51], v[112:113], v[52:53]
	;; [unrolled: 3-line block ×4, first 2 shown]
	v_fmac_f64_e32 v[6:7], v[112:113], v[4:5]
	v_cvt_i32_f64_e32 v4, v[102:103]
	s_delay_alu instid0(VALU_DEP_2) | instskip(NEXT) | instid1(VALU_DEP_1)
	v_fmac_f64_e32 v[30:31], v[112:113], v[6:7]
	v_fma_f64 v[2:3], v[112:113], v[30:31], 1.0
	s_delay_alu instid0(VALU_DEP_1) | instskip(NEXT) | instid1(VALU_DEP_1)
	v_fma_f64 v[2:3], v[112:113], v[2:3], 1.0
	v_ldexp_f64 v[2:3], v[2:3], v4
	s_delay_alu instid0(VALU_DEP_1)
	v_cndmask_b32_e32 v3, 0x7ff00000, v3, vcc_lo
	s_and_b32 vcc_lo, s0, vcc_lo
	s_delay_alu instid0(VALU_DEP_1) | instid1(SALU_CYCLE_1)
	v_dual_cndmask_b32 v2, 0, v2, vcc_lo :: v_dual_cndmask_b32 v3, 0, v3, s0
	s_mov_b64 s[0:1], 0xbf61f39873219d23
	s_delay_alu instid0(VALU_DEP_1) | instskip(SKIP_1) | instid1(VALU_DEP_2)
	v_fma_f64 v[4:5], v[2:3], v[100:101], v[2:3]
	v_cmp_class_f64_e64 vcc_lo, v[2:3], 0x204
	v_dual_cndmask_b32 v3, v5, v3 :: v_dual_cndmask_b32 v2, v4, v2
	s_delay_alu instid0(VALU_DEP_1) | instskip(SKIP_3) | instid1(VALU_DEP_1)
	v_mul_f64_e64 v[30:31], v[0:1], |v[2:3]|
	v_add_f64_e32 v[2:3], 0xc0212d61a833213e, v[14:15]
	v_fmaak_f64 v[0:1], s[0:1], v[14:15], 0xbfbe7de0f4720604
	s_mov_b64 s[0:1], 0x40212d61a833213e
	v_fmaak_f64 v[0:1], v[14:15], v[0:1], 0xbfe801f4ca767e40
	s_delay_alu instid0(VALU_DEP_3) | instskip(NEXT) | instid1(VALU_DEP_1)
	v_div_scale_f64 v[4:5], null, v[2:3], v[2:3], s[0:1]
	v_rcp_f64_e32 v[6:7], v[4:5]
	v_nop
	s_delay_alu instid0(TRANS32_DEP_1) | instskip(NEXT) | instid1(VALU_DEP_1)
	v_fma_f64 v[34:35], -v[4:5], v[6:7], 1.0
	v_fmac_f64_e32 v[6:7], v[6:7], v[34:35]
	s_delay_alu instid0(VALU_DEP_1) | instskip(NEXT) | instid1(VALU_DEP_1)
	v_fma_f64 v[34:35], -v[4:5], v[6:7], 1.0
	v_fmac_f64_e32 v[6:7], v[6:7], v[34:35]
	v_div_scale_f64 v[34:35], vcc_lo, s[0:1], v[2:3], s[0:1]
	s_delay_alu instid0(VALU_DEP_1) | instskip(NEXT) | instid1(VALU_DEP_1)
	v_mul_f64_e32 v[48:49], v[34:35], v[6:7]
	v_fma_f64 v[4:5], -v[4:5], v[48:49], v[34:35]
	s_delay_alu instid0(VALU_DEP_1) | instskip(NEXT) | instid1(VALU_DEP_1)
	v_div_fmas_f64 v[4:5], v[4:5], v[6:7], v[48:49]
	v_div_fixup_f64 v[6:7], v[4:5], v[2:3], s[0:1]
	v_add_f64_e32 v[2:3], 0xc00f6a6bd7175b27, v[14:15]
	s_mov_b64 s[0:1], 0xbf4fa6130ca57d62
	s_delay_alu instid0(VALU_DEP_2)
	v_fmac_f64_e32 v[6:7], v[0:1], v[30:31]
	v_fmaak_f64 v[0:1], s[0:1], v[14:15], 0xbfa707e8375fd124
	s_mov_b64 s[0:1], 0x400f6a6bd7175b27
	s_delay_alu instid0(VALU_DEP_3) | instid1(SALU_CYCLE_1)
	v_div_scale_f64 v[4:5], null, v[2:3], v[2:3], s[0:1]
	s_delay_alu instid0(VALU_DEP_2) | instskip(NEXT) | instid1(VALU_DEP_2)
	v_fmaak_f64 v[0:1], v[14:15], v[0:1], 0x3fe37b28a731c764
	v_rcp_f64_e32 v[34:35], v[4:5]
	v_nop
	s_delay_alu instid0(TRANS32_DEP_1) | instskip(NEXT) | instid1(VALU_DEP_1)
	v_fma_f64 v[48:49], -v[4:5], v[34:35], 1.0
	v_fmac_f64_e32 v[34:35], v[34:35], v[48:49]
	s_delay_alu instid0(VALU_DEP_1) | instskip(NEXT) | instid1(VALU_DEP_1)
	v_fma_f64 v[48:49], -v[4:5], v[34:35], 1.0
	v_fmac_f64_e32 v[34:35], v[34:35], v[48:49]
	v_div_scale_f64 v[48:49], vcc_lo, s[0:1], v[2:3], s[0:1]
	s_delay_alu instid0(VALU_DEP_1) | instskip(NEXT) | instid1(VALU_DEP_1)
	v_mul_f64_e32 v[50:51], v[48:49], v[34:35]
	v_fma_f64 v[4:5], -v[4:5], v[50:51], v[48:49]
	s_delay_alu instid0(VALU_DEP_1) | instskip(NEXT) | instid1(VALU_DEP_1)
	v_div_fmas_f64 v[4:5], v[4:5], v[34:35], v[50:51]
	v_div_fixup_f64 v[4:5], v[4:5], v[2:3], s[0:1]
	v_add_f64_e32 v[2:3], 0xbff56cf1472aa3dd, v[14:15]
	s_mov_b64 s[0:1], 0xbf37c2e965435abc
	s_delay_alu instid0(VALU_DEP_2)
	v_fmac_f64_e32 v[4:5], v[0:1], v[30:31]
	v_fmaak_f64 v[0:1], s[0:1], v[14:15], 0xbf829efe27365a80
	s_mov_b64 s[0:1], 0x3ff56cf1472aa3dd
	s_delay_alu instid0(VALU_DEP_3) | instid1(SALU_CYCLE_1)
	v_div_scale_f64 v[34:35], null, v[2:3], v[2:3], s[0:1]
	s_delay_alu instid0(VALU_DEP_2) | instskip(NEXT) | instid1(VALU_DEP_2)
	v_fmaak_f64 v[0:1], v[14:15], v[0:1], 0x3fc79858d30515cf
	v_rcp_f64_e32 v[48:49], v[34:35]
	v_nop
	s_delay_alu instid0(TRANS32_DEP_1) | instskip(NEXT) | instid1(VALU_DEP_1)
	v_fma_f64 v[50:51], -v[34:35], v[48:49], 1.0
	v_fmac_f64_e32 v[48:49], v[48:49], v[50:51]
	s_delay_alu instid0(VALU_DEP_1) | instskip(NEXT) | instid1(VALU_DEP_1)
	v_fma_f64 v[50:51], -v[34:35], v[48:49], 1.0
	v_fmac_f64_e32 v[48:49], v[48:49], v[50:51]
	v_div_scale_f64 v[50:51], vcc_lo, s[0:1], v[2:3], s[0:1]
	s_delay_alu instid0(VALU_DEP_1) | instskip(NEXT) | instid1(VALU_DEP_1)
	v_mul_f64_e32 v[52:53], v[50:51], v[48:49]
	v_fma_f64 v[34:35], -v[34:35], v[52:53], v[50:51]
	s_delay_alu instid0(VALU_DEP_1) | instskip(NEXT) | instid1(VALU_DEP_1)
	v_div_fmas_f64 v[34:35], v[34:35], v[48:49], v[52:53]
	v_div_fixup_f64 v[2:3], v[34:35], v[2:3], s[0:1]
	s_mov_b64 s[0:1], 0xbf055e24fefc0d3c
	s_delay_alu instid0(VALU_DEP_1) | instskip(SKIP_2) | instid1(VALU_DEP_1)
	v_fmac_f64_e32 v[2:3], v[0:1], v[30:31]
	v_fmaak_f64 v[0:1], s[0:1], v[14:15], 0xbf46927760dfed5e
	s_mov_b64 s[0:1], 0x3fc2994e486cd916
	v_fmaak_f64 v[34:35], v[14:15], v[0:1], 0x3f91e451b3849783
	v_add_f64_e32 v[0:1], 0xbfc2994e486cd916, v[14:15]
	s_delay_alu instid0(VALU_DEP_1) | instskip(NEXT) | instid1(VALU_DEP_1)
	v_div_scale_f64 v[48:49], null, v[0:1], v[0:1], s[0:1]
	v_rcp_f64_e32 v[50:51], v[48:49]
	v_nop
	s_delay_alu instid0(TRANS32_DEP_1) | instskip(NEXT) | instid1(VALU_DEP_1)
	v_fma_f64 v[52:53], -v[48:49], v[50:51], 1.0
	v_fmac_f64_e32 v[50:51], v[50:51], v[52:53]
	s_delay_alu instid0(VALU_DEP_1) | instskip(NEXT) | instid1(VALU_DEP_1)
	v_fma_f64 v[52:53], -v[48:49], v[50:51], 1.0
	v_fmac_f64_e32 v[50:51], v[50:51], v[52:53]
	v_div_scale_f64 v[52:53], vcc_lo, s[0:1], v[0:1], s[0:1]
	s_delay_alu instid0(VALU_DEP_1) | instskip(NEXT) | instid1(VALU_DEP_1)
	v_mul_f64_e32 v[54:55], v[52:53], v[50:51]
	v_fma_f64 v[48:49], -v[48:49], v[54:55], v[52:53]
	s_delay_alu instid0(VALU_DEP_1) | instskip(NEXT) | instid1(VALU_DEP_1)
	v_div_fmas_f64 v[48:49], v[48:49], v[50:51], v[54:55]
	v_div_fixup_f64 v[0:1], v[48:49], v[0:1], s[0:1]
	s_mov_b64 s[0:1], 0x3ed82f89ec42c863
	s_delay_alu instid0(VALU_DEP_1) | instskip(SKIP_2) | instid1(VALU_DEP_1)
	v_fmac_f64_e32 v[0:1], v[34:35], v[30:31]
	v_fmaak_f64 v[34:35], s[0:1], v[14:15], 0xbf14b0256e03bb1d
	s_mov_b64 s[0:1], 0x3f2b4d382abb056e
	v_fmaak_f64 v[34:35], v[14:15], v[34:35], 0x3f3583ed0d6d83a5
	s_delay_alu instid0(VALU_DEP_1) | instskip(NEXT) | instid1(VALU_DEP_1)
	v_mul_f64_e32 v[34:35], v[34:35], v[30:31]
	v_fmamk_f64 v[50:51], v[18:19], 0x3f2d856f0999f3b2, v[34:35]
	v_fmaak_f64 v[34:35], s[0:1], v[14:15], 0xbf6eec89c363f0e3
	s_mov_b64 s[0:1], 0x3f443286326ec13e
	s_delay_alu instid0(VALU_DEP_1) | instskip(NEXT) | instid1(VALU_DEP_1)
	v_fmaak_f64 v[34:35], v[14:15], v[34:35], 0x3f957d47813620f6
	v_mul_f64_e32 v[34:35], v[34:35], v[30:31]
	s_delay_alu instid0(VALU_DEP_1) | instskip(SKIP_1) | instid1(VALU_DEP_1)
	v_fmamk_f64 v[48:49], v[18:19], 0x3f93bba15a77e739, v[34:35]
	v_fmaak_f64 v[34:35], s[0:1], v[14:15], 0xbf89f3583f893c63
	v_fmaak_f64 v[14:15], v[14:15], v[34:35], 0x3fb4d9f072d00ae0
	s_delay_alu instid0(VALU_DEP_1) | instskip(NEXT) | instid1(VALU_DEP_1)
	v_mul_f64_e32 v[14:15], v[14:15], v[30:31]
	v_fmamk_f64 v[54:55], v[18:19], 0x3fce036f41317cef, v[14:15]
	s_delay_alu instid0(VALU_DEP_1) | instskip(NEXT) | instid1(VALU_DEP_1)
	v_add_f64_e64 v[14:15], v[18:19], -v[54:55]
                                        ; implicit-def: $vgpr18_vgpr19
	v_add_f64_e64 v[14:15], v[14:15], -v[48:49]
	s_delay_alu instid0(VALU_DEP_1)
	v_add_f64_e64 v[52:53], v[14:15], -v[50:51]
                                        ; implicit-def: $vgpr14_vgpr15
.LBB0_70:
	s_and_not1_saveexec_b32 s13, s2
	s_cbranch_execz .LBB0_72
; %bb.71:
	v_add_f64_e32 v[0:1], 0xbfc2994e486cd916, v[14:15]
	v_add_f64_e32 v[2:3], 0xbff56cf1472aa3dd, v[14:15]
	;; [unrolled: 1-line block ×4, first 2 shown]
	s_mov_b64 s[14:15], 0x3fc2994e486cd916
	s_mov_b64 s[16:17], 0x3ff56cf1472aa3dd
	;; [unrolled: 1-line block ×4, first 2 shown]
	s_delay_alu instid0(VALU_DEP_4) | instskip(NEXT) | instid1(VALU_DEP_4)
	v_div_scale_f64 v[14:15], null, v[0:1], v[0:1], s[14:15]
	v_div_scale_f64 v[30:31], null, v[2:3], v[2:3], s[16:17]
	s_delay_alu instid0(VALU_DEP_4) | instskip(NEXT) | instid1(VALU_DEP_4)
	v_div_scale_f64 v[34:35], null, v[4:5], v[4:5], s[18:19]
	v_div_scale_f64 v[48:49], null, v[6:7], v[6:7], s[20:21]
	v_div_scale_f64 v[60:61], vcc_lo, s[14:15], v[0:1], s[14:15]
	v_rcp_f64_e32 v[50:51], v[14:15]
	s_delay_alu instid0(VALU_DEP_4) | instskip(NEXT) | instid1(VALU_DEP_3)
	v_rcp_f64_e32 v[52:53], v[30:31]
	v_rcp_f64_e32 v[54:55], v[34:35]
	s_delay_alu instid0(VALU_DEP_2) | instskip(SKIP_1) | instid1(TRANS32_DEP_3)
	v_rcp_f64_e32 v[98:99], v[48:49]
	v_fma_f64 v[100:101], -v[14:15], v[50:51], 1.0
	v_fma_f64 v[102:103], -v[30:31], v[52:53], 1.0
	s_delay_alu instid0(TRANS32_DEP_2) | instskip(NEXT) | instid1(TRANS32_DEP_1)
	v_fma_f64 v[112:113], -v[34:35], v[54:55], 1.0
	v_fma_f64 v[114:115], -v[48:49], v[98:99], 1.0
	s_delay_alu instid0(VALU_DEP_4) | instskip(NEXT) | instid1(VALU_DEP_4)
	v_fmac_f64_e32 v[50:51], v[50:51], v[100:101]
	v_fmac_f64_e32 v[52:53], v[52:53], v[102:103]
	s_delay_alu instid0(VALU_DEP_4) | instskip(NEXT) | instid1(VALU_DEP_4)
	v_fmac_f64_e32 v[54:55], v[54:55], v[112:113]
	v_fmac_f64_e32 v[98:99], v[98:99], v[114:115]
	s_delay_alu instid0(VALU_DEP_4) | instskip(NEXT) | instid1(VALU_DEP_4)
	v_fma_f64 v[100:101], -v[14:15], v[50:51], 1.0
	v_fma_f64 v[102:103], -v[30:31], v[52:53], 1.0
	s_delay_alu instid0(VALU_DEP_4) | instskip(NEXT) | instid1(VALU_DEP_4)
	v_fma_f64 v[112:113], -v[34:35], v[54:55], 1.0
	v_fma_f64 v[114:115], -v[48:49], v[98:99], 1.0
	s_delay_alu instid0(VALU_DEP_4)
	v_fmac_f64_e32 v[50:51], v[50:51], v[100:101]
	v_div_scale_f64 v[100:101], s0, s[16:17], v[2:3], s[16:17]
	v_fmac_f64_e32 v[52:53], v[52:53], v[102:103]
	v_div_scale_f64 v[102:103], s1, s[18:19], v[4:5], s[18:19]
	;; [unrolled: 2-line block ×3, first 2 shown]
	v_fmac_f64_e32 v[98:99], v[98:99], v[114:115]
	v_mul_f64_e32 v[114:115], v[60:61], v[50:51]
	v_mul_f64_e32 v[62:63], v[100:101], v[52:53]
	;; [unrolled: 1-line block ×3, first 2 shown]
	s_delay_alu instid0(VALU_DEP_4) | instskip(NEXT) | instid1(VALU_DEP_4)
	v_mul_f64_e32 v[74:75], v[112:113], v[98:99]
	v_fma_f64 v[14:15], -v[14:15], v[114:115], v[60:61]
	s_delay_alu instid0(VALU_DEP_4) | instskip(NEXT) | instid1(VALU_DEP_4)
	v_fma_f64 v[30:31], -v[30:31], v[62:63], v[100:101]
	v_fma_f64 v[34:35], -v[34:35], v[72:73], v[102:103]
	s_delay_alu instid0(VALU_DEP_4) | instskip(NEXT) | instid1(VALU_DEP_4)
	v_fma_f64 v[48:49], -v[48:49], v[74:75], v[112:113]
	v_div_fmas_f64 v[14:15], v[14:15], v[50:51], v[114:115]
	s_mov_b32 vcc_lo, s0
	v_mul_f64_e32 v[50:51], 0x3f2d856f0999f3b2, v[18:19]
	v_div_fmas_f64 v[30:31], v[30:31], v[52:53], v[62:63]
	s_mov_b32 vcc_lo, s1
	v_div_fmas_f64 v[34:35], v[34:35], v[54:55], v[72:73]
	s_mov_b32 vcc_lo, s2
	v_mul_f64_e32 v[54:55], 0x3fce036f41317cef, v[18:19]
	v_div_fmas_f64 v[52:53], v[48:49], v[98:99], v[74:75]
	v_mul_f64_e32 v[48:49], 0x3f93bba15a77e739, v[18:19]
	v_div_fixup_f64 v[0:1], v[14:15], v[0:1], s[14:15]
	v_fmamk_f64 v[14:15], v[18:19], 0xbfce036f41317cef, v[18:19]
	v_div_fixup_f64 v[2:3], v[30:31], v[2:3], s[16:17]
	v_div_fixup_f64 v[4:5], v[34:35], v[4:5], s[18:19]
	s_delay_alu instid0(VALU_DEP_3) | instskip(SKIP_1) | instid1(VALU_DEP_2)
	v_fmamk_f64 v[14:15], v[18:19], 0xbf93bba15a77e739, v[14:15]
	v_div_fixup_f64 v[6:7], v[52:53], v[6:7], s[20:21]
	v_fmamk_f64 v[52:53], v[18:19], 0xbf2d856f0999f3b2, v[14:15]
.LBB0_72:
	s_or_b32 exec_lo, exec_lo, s13
.LBB0_73:
	s_delay_alu instid0(SALU_CYCLE_1)
	s_or_b32 exec_lo, exec_lo, s12
.LBB0_74:
	s_delay_alu instid0(SALU_CYCLE_1)
	s_or_b32 exec_lo, exec_lo, s3
.LBB0_75:
	s_delay_alu instid0(SALU_CYCLE_1)
	s_or_b32 exec_lo, exec_lo, s11
.LBB0_76:
	s_delay_alu instid0(SALU_CYCLE_1)
	s_or_b32 exec_lo, exec_lo, s10
.LBB0_77:
	s_delay_alu instid0(SALU_CYCLE_1)
	s_or_b32 exec_lo, exec_lo, s9
.LBB0_78:
	s_delay_alu instid0(SALU_CYCLE_1)
	s_or_b32 exec_lo, exec_lo, s8
.LBB0_79:
	s_delay_alu instid0(SALU_CYCLE_1)
	s_or_b32 exec_lo, exec_lo, s7
	s_clause 0x3
	scratch_store_b128 off, v[0:3], s33 offset:192
	scratch_store_b128 off, v[4:7], s33 offset:208
	;; [unrolled: 1-line block ×4, first 2 shown]
.LBB0_80:
	s_wait_xcnt 0x0
	s_or_b32 exec_lo, exec_lo, s6
.LBB0_81:
	s_delay_alu instid0(SALU_CYCLE_1)
	s_or_b32 exec_lo, exec_lo, s5
                                        ; implicit-def: $vgpr14_vgpr15
.LBB0_82:
	s_and_not1_saveexec_b32 s2, s4
	s_cbranch_execz .LBB0_221
; %bb.83:
	s_mov_b64 s[0:1], 0x3e9421f5f40d8376
                                        ; implicit-def: $vgpr18_vgpr19
                                        ; implicit-def: $vgpr30_vgpr31
                                        ; implicit-def: $vgpr4_vgpr5
                                        ; implicit-def: $vgpr6_vgpr7
                                        ; implicit-def: $vgpr2_vgpr3
                                        ; implicit-def: $vgpr0_vgpr1
	s_delay_alu instid0(VALU_DEP_2) | instid1(SALU_CYCLE_1)
	v_cmp_ngt_f64_e32 vcc_lo, s[0:1], v[14:15]
	s_and_saveexec_b32 s0, vcc_lo
	s_delay_alu instid0(SALU_CYCLE_1)
	s_xor_b32 s3, exec_lo, s0
	s_cbranch_execz .LBB0_202
; %bb.84:
                                        ; implicit-def: $vgpr18_vgpr19
                                        ; implicit-def: $vgpr30_vgpr31
                                        ; implicit-def: $vgpr4_vgpr5
                                        ; implicit-def: $vgpr6_vgpr7
                                        ; implicit-def: $vgpr2_vgpr3
                                        ; implicit-def: $vgpr0_vgpr1
	s_mov_b32 s0, exec_lo
	v_cmpx_ngt_f64_e32 1.0, v[14:15]
	s_xor_b32 s4, exec_lo, s0
	s_cbranch_execz .LBB0_188
; %bb.85:
                                        ; implicit-def: $vgpr18_vgpr19
                                        ; implicit-def: $vgpr30_vgpr31
                                        ; implicit-def: $vgpr4_vgpr5
                                        ; implicit-def: $vgpr6_vgpr7
                                        ; implicit-def: $vgpr2_vgpr3
                                        ; implicit-def: $vgpr0_vgpr1
	s_mov_b32 s0, exec_lo
	v_cmpx_ngt_f64_e32 0x40080000, v[14:15]
	s_xor_b32 s5, exec_lo, s0
	s_cbranch_execz .LBB0_174
; %bb.86:
                                        ; implicit-def: $vgpr18_vgpr19
                                        ; implicit-def: $vgpr30_vgpr31
                                        ; implicit-def: $vgpr4_vgpr5
                                        ; implicit-def: $vgpr6_vgpr7
                                        ; implicit-def: $vgpr2_vgpr3
                                        ; implicit-def: $vgpr0_vgpr1
	s_mov_b32 s0, exec_lo
	v_cmpx_ngt_f64_e32 0x40140000, v[14:15]
	;; [unrolled: 11-line block ×5, first 2 shown]
	s_xor_b32 s9, exec_lo, s0
	s_cbranch_execz .LBB0_111
; %bb.90:
	s_mov_b64 s[0:1], 0x3fe921fb54442d15
                                        ; implicit-def: $vgpr18_vgpr19
                                        ; implicit-def: $vgpr30_vgpr31
	s_delay_alu instid0(SALU_CYCLE_1) | instskip(SKIP_1) | instid1(VALU_DEP_2)
	v_div_scale_f64 v[0:1], null, v[14:15], v[14:15], s[0:1]
	v_div_scale_f64 v[6:7], vcc_lo, s[0:1], v[14:15], s[0:1]
	v_rcp_f64_e32 v[2:3], v[0:1]
	v_nop
	s_delay_alu instid0(TRANS32_DEP_1) | instskip(NEXT) | instid1(VALU_DEP_1)
	v_fma_f64 v[4:5], -v[0:1], v[2:3], 1.0
	v_fmac_f64_e32 v[2:3], v[2:3], v[4:5]
	s_delay_alu instid0(VALU_DEP_1) | instskip(NEXT) | instid1(VALU_DEP_1)
	v_fma_f64 v[4:5], -v[0:1], v[2:3], 1.0
	v_fmac_f64_e32 v[2:3], v[2:3], v[4:5]
	s_delay_alu instid0(VALU_DEP_1) | instskip(NEXT) | instid1(VALU_DEP_1)
	v_mul_f64_e32 v[4:5], v[6:7], v[2:3]
	v_fma_f64 v[0:1], -v[0:1], v[4:5], v[6:7]
	s_delay_alu instid0(VALU_DEP_1) | instskip(NEXT) | instid1(VALU_DEP_1)
	v_div_fmas_f64 v[0:1], v[0:1], v[2:3], v[4:5]
	v_div_fixup_f64 v[0:1], v[0:1], v[14:15], s[0:1]
	s_delay_alu instid0(VALU_DEP_1) | instskip(SKIP_1) | instid1(VALU_DEP_1)
	v_cmp_gt_f64_e32 vcc_lo, 0x10000000, v[0:1]
	v_cndmask_b32_e64 v2, 0, 0x100, vcc_lo
	v_ldexp_f64 v[0:1], v[0:1], v2
	s_delay_alu instid0(VALU_DEP_1) | instskip(SKIP_1) | instid1(TRANS32_DEP_1)
	v_rsq_f64_e32 v[2:3], v[0:1]
	v_nop
	v_mul_f64_e32 v[4:5], v[0:1], v[2:3]
	v_mul_f64_e32 v[2:3], 0.5, v[2:3]
	s_delay_alu instid0(VALU_DEP_1) | instskip(NEXT) | instid1(VALU_DEP_1)
	v_fma_f64 v[6:7], -v[2:3], v[4:5], 0.5
	v_fmac_f64_e32 v[4:5], v[4:5], v[6:7]
	v_fmac_f64_e32 v[2:3], v[2:3], v[6:7]
	s_delay_alu instid0(VALU_DEP_2) | instskip(NEXT) | instid1(VALU_DEP_1)
	v_fma_f64 v[6:7], -v[4:5], v[4:5], v[0:1]
	v_fmac_f64_e32 v[4:5], v[6:7], v[2:3]
	s_delay_alu instid0(VALU_DEP_1) | instskip(NEXT) | instid1(VALU_DEP_1)
	v_fma_f64 v[6:7], -v[4:5], v[4:5], v[0:1]
	v_fmac_f64_e32 v[4:5], v[6:7], v[2:3]
	v_cndmask_b32_e64 v2, 0, 0xffffff80, vcc_lo
	v_cmp_class_f64_e64 vcc_lo, v[0:1], 0x260
                                        ; implicit-def: $vgpr6_vgpr7
	s_delay_alu instid0(VALU_DEP_2) | instskip(NEXT) | instid1(VALU_DEP_1)
	v_ldexp_f64 v[2:3], v[4:5], v2
	v_dual_cndmask_b32 v5, v3, v1 :: v_dual_cndmask_b32 v4, v2, v0
	scratch_load_b32 v0, off, s33 offset:744 ; 4-byte Folded Reload
                                        ; implicit-def: $vgpr2_vgpr3
	s_wait_loadcnt 0x0
	v_cmp_lt_i32_e32 vcc_lo, 0, v0
                                        ; implicit-def: $vgpr0_vgpr1
	s_wait_xcnt 0x0
	s_and_saveexec_b32 s0, vcc_lo
	s_delay_alu instid0(SALU_CYCLE_1)
	s_xor_b32 s10, exec_lo, s0
	s_cbranch_execz .LBB0_106
; %bb.91:
	scratch_load_b32 v0, off, s33 offset:744 ; 4-byte Folded Reload
                                        ; implicit-def: $vgpr18_vgpr19
                                        ; implicit-def: $vgpr30_vgpr31
                                        ; implicit-def: $vgpr6_vgpr7
                                        ; implicit-def: $vgpr2_vgpr3
	s_wait_loadcnt 0x0
	v_cmp_lt_i32_e32 vcc_lo, 1, v0
                                        ; implicit-def: $vgpr0_vgpr1
	s_wait_xcnt 0x0
	s_and_saveexec_b32 s0, vcc_lo
	s_delay_alu instid0(SALU_CYCLE_1)
	s_xor_b32 s11, exec_lo, s0
	s_cbranch_execz .LBB0_99
; %bb.92:
	scratch_load_b32 v34, off, s33 offset:744 ; 4-byte Folded Reload
	v_mov_b64_e32 v[18:19], 0
	v_mov_b64_e32 v[30:31], 0
	;; [unrolled: 1-line block ×5, first 2 shown]
	s_mov_b32 s12, exec_lo
	s_wait_loadcnt 0x0
	v_cmpx_eq_u32_e32 2, v34
	s_cbranch_execz .LBB0_98
; %bb.93:
                                        ; implicit-def: $vgpr18_vgpr19
                                        ; implicit-def: $vgpr30_vgpr31
                                        ; implicit-def: $vgpr6_vgpr7
                                        ; implicit-def: $vgpr2_vgpr3
                                        ; implicit-def: $vgpr0_vgpr1
	s_mov_b32 s0, exec_lo
	v_cmpx_ngt_f64_e32 0x40478000, v[14:15]
	s_xor_b32 s13, exec_lo, s0
	s_cbranch_execz .LBB0_95
; %bb.94:
	v_add_f64_e32 v[0:1], 0xbfc85747227076b0, v[14:15]
	v_add_f64_e32 v[2:3], 0xbffc8d4844af141d, v[14:15]
	;; [unrolled: 1-line block ×3, first 2 shown]
	s_mov_b64 s[14:15], 0x3fc85747227076b0
	s_mov_b64 s[16:17], 0x3ffc8d4844af141d
	;; [unrolled: 1-line block ×3, first 2 shown]
	s_delay_alu instid0(VALU_DEP_3) | instskip(NEXT) | instid1(VALU_DEP_3)
	v_div_scale_f64 v[14:15], null, v[0:1], v[0:1], s[14:15]
	v_div_scale_f64 v[18:19], null, v[2:3], v[2:3], s[16:17]
	s_delay_alu instid0(VALU_DEP_3) | instskip(SKIP_1) | instid1(VALU_DEP_4)
	v_div_scale_f64 v[30:31], null, v[6:7], v[6:7], s[18:19]
	v_div_scale_f64 v[100:101], vcc_lo, s[14:15], v[0:1], s[14:15]
	v_rcp_f64_e32 v[34:35], v[14:15]
	s_delay_alu instid0(VALU_DEP_3) | instskip(NEXT) | instid1(VALU_DEP_2)
	v_rcp_f64_e32 v[48:49], v[18:19]
	v_rcp_f64_e32 v[50:51], v[30:31]
	s_delay_alu instid0(TRANS32_DEP_3) | instskip(NEXT) | instid1(TRANS32_DEP_2)
	v_fma_f64 v[52:53], -v[14:15], v[34:35], 1.0
	v_fma_f64 v[54:55], -v[18:19], v[48:49], 1.0
	s_delay_alu instid0(TRANS32_DEP_1) | instskip(NEXT) | instid1(VALU_DEP_3)
	v_fma_f64 v[98:99], -v[30:31], v[50:51], 1.0
	v_fmac_f64_e32 v[34:35], v[34:35], v[52:53]
	s_delay_alu instid0(VALU_DEP_3) | instskip(NEXT) | instid1(VALU_DEP_3)
	v_fmac_f64_e32 v[48:49], v[48:49], v[54:55]
	v_fmac_f64_e32 v[50:51], v[50:51], v[98:99]
	s_delay_alu instid0(VALU_DEP_3) | instskip(NEXT) | instid1(VALU_DEP_3)
	v_fma_f64 v[52:53], -v[14:15], v[34:35], 1.0
	v_fma_f64 v[54:55], -v[18:19], v[48:49], 1.0
	s_delay_alu instid0(VALU_DEP_3) | instskip(NEXT) | instid1(VALU_DEP_3)
	v_fma_f64 v[98:99], -v[30:31], v[50:51], 1.0
	v_fmac_f64_e32 v[34:35], v[34:35], v[52:53]
	v_div_scale_f64 v[52:53], s0, s[16:17], v[2:3], s[16:17]
	s_delay_alu instid0(VALU_DEP_4) | instskip(SKIP_3) | instid1(VALU_DEP_4)
	v_fmac_f64_e32 v[48:49], v[48:49], v[54:55]
	v_div_scale_f64 v[54:55], s1, s[18:19], v[6:7], s[18:19]
	v_fmac_f64_e32 v[50:51], v[50:51], v[98:99]
	v_mul_f64_e32 v[98:99], v[100:101], v[34:35]
	v_mul_f64_e32 v[102:103], v[52:53], v[48:49]
	s_delay_alu instid0(VALU_DEP_3) | instskip(NEXT) | instid1(VALU_DEP_3)
	v_mul_f64_e32 v[112:113], v[54:55], v[50:51]
	v_fma_f64 v[14:15], -v[14:15], v[98:99], v[100:101]
	s_delay_alu instid0(VALU_DEP_3) | instskip(NEXT) | instid1(VALU_DEP_3)
	v_fma_f64 v[18:19], -v[18:19], v[102:103], v[52:53]
	v_fma_f64 v[30:31], -v[30:31], v[112:113], v[54:55]
	s_delay_alu instid0(VALU_DEP_3) | instskip(SKIP_1) | instid1(VALU_DEP_3)
	v_div_fmas_f64 v[14:15], v[14:15], v[34:35], v[98:99]
	s_mov_b32 vcc_lo, s0
	v_div_fmas_f64 v[18:19], v[18:19], v[48:49], v[102:103]
	s_mov_b32 vcc_lo, s1
	s_delay_alu instid0(VALU_DEP_3) | instskip(SKIP_1) | instid1(VALU_DEP_4)
	v_div_fmas_f64 v[34:35], v[30:31], v[50:51], v[112:113]
	v_mul_f64_e32 v[30:31], 0x3fc6af858329214a, v[4:5]
	v_div_fixup_f64 v[0:1], v[14:15], v[0:1], s[14:15]
	v_fmamk_f64 v[14:15], v[4:5], 0xbfc6af858329214a, v[4:5]
	v_div_fixup_f64 v[2:3], v[18:19], v[2:3], s[16:17]
	v_mul_f64_e32 v[18:19], 0x3f74efde4d84c79e, v[4:5]
	v_div_fixup_f64 v[6:7], v[34:35], v[6:7], s[18:19]
	s_delay_alu instid0(VALU_DEP_4)
	v_fmamk_f64 v[4:5], v[4:5], 0xbf74efde4d84c79e, v[14:15]
                                        ; implicit-def: $vgpr14_vgpr15
.LBB0_95:
	s_and_not1_saveexec_b32 s0, s13
	s_cbranch_execz .LBB0_97
; %bb.96:
	v_mul_f64_e32 v[0:1], 0xbff71547652b82fe, v[14:15]
	s_mov_b64 s[14:15], 0xbfe62e42fefa39ef
	s_delay_alu instid0(VALU_DEP_1) | instskip(NEXT) | instid1(VALU_DEP_1)
	v_rndne_f64_e32 v[0:1], v[0:1]
	v_fma_f64 v[2:3], v[0:1], s[14:15], -v[14:15]
	s_mov_b64 s[14:15], 0x3e5ade156a5dcb37
	s_delay_alu instid0(VALU_DEP_1) | instskip(SKIP_1) | instid1(VALU_DEP_2)
	v_fmamk_f64 v[2:3], v[0:1], 0xbc7abc9e3b39803f, v[2:3]
	v_cvt_i32_f64_e32 v0, v[0:1]
	v_fmaak_f64 v[6:7], s[14:15], v[2:3], 0x3e928af3fca7ab0c
	s_mov_b64 s[14:15], 0xc01d8ff56e2adcdd
	s_delay_alu instid0(VALU_DEP_1) | instskip(NEXT) | instid1(VALU_DEP_1)
	v_fmaak_f64 v[6:7], v[2:3], v[6:7], 0x3ec71dee623fde64
	v_fmaak_f64 v[6:7], v[2:3], v[6:7], 0x3efa01997c89e6b0
	s_delay_alu instid0(VALU_DEP_1) | instskip(NEXT) | instid1(VALU_DEP_1)
	v_fmaak_f64 v[6:7], v[2:3], v[6:7], 0x3f2a01a014761f6e
	v_fmaak_f64 v[6:7], v[2:3], v[6:7], 0x3f56c16c1852b7b0
	;; [unrolled: 3-line block ×4, first 2 shown]
	s_delay_alu instid0(VALU_DEP_1) | instskip(NEXT) | instid1(VALU_DEP_1)
	v_fma_f64 v[6:7], v[2:3], v[6:7], 1.0
	v_fma_f64 v[2:3], v[2:3], v[6:7], 1.0
	s_delay_alu instid0(VALU_DEP_1) | instskip(SKIP_2) | instid1(VALU_DEP_1)
	v_ldexp_f64 v[30:31], v[2:3], v0
	v_fmaak_f64 v[0:1], s[14:15], v[14:15], 0x40741517f8d19143
	s_mov_b64 s[14:15], 0x3fc85747227076b0
	v_fmaak_f64 v[2:3], v[14:15], v[0:1], 0xc0af34ac86a45708
	v_add_f64_e32 v[0:1], 0xbfc85747227076b0, v[14:15]
	s_delay_alu instid0(VALU_DEP_1) | instskip(NEXT) | instid1(VALU_DEP_1)
	v_div_scale_f64 v[6:7], null, v[0:1], v[0:1], s[14:15]
	v_rcp_f64_e32 v[18:19], v[6:7]
	v_nop
	s_delay_alu instid0(TRANS32_DEP_1) | instskip(NEXT) | instid1(VALU_DEP_1)
	v_fma_f64 v[34:35], -v[6:7], v[18:19], 1.0
	v_fmac_f64_e32 v[18:19], v[18:19], v[34:35]
	s_delay_alu instid0(VALU_DEP_1) | instskip(NEXT) | instid1(VALU_DEP_1)
	v_fma_f64 v[34:35], -v[6:7], v[18:19], 1.0
	v_fmac_f64_e32 v[18:19], v[18:19], v[34:35]
	v_div_scale_f64 v[34:35], vcc_lo, s[14:15], v[0:1], s[14:15]
	s_delay_alu instid0(VALU_DEP_1) | instskip(NEXT) | instid1(VALU_DEP_1)
	v_mul_f64_e32 v[48:49], v[34:35], v[18:19]
	v_fma_f64 v[6:7], -v[6:7], v[48:49], v[34:35]
	s_delay_alu instid0(VALU_DEP_1) | instskip(NEXT) | instid1(VALU_DEP_1)
	v_div_fmas_f64 v[6:7], v[6:7], v[18:19], v[48:49]
	v_div_fixup_f64 v[0:1], v[6:7], v[0:1], s[14:15]
	s_mov_b64 s[14:15], 0xc05277d913f8e283
	s_delay_alu instid0(VALU_DEP_1) | instskip(SKIP_2) | instid1(VALU_DEP_1)
	v_fmac_f64_e32 v[0:1], v[2:3], v[30:31]
	v_fmaak_f64 v[2:3], s[14:15], v[14:15], 0x40a87f663a45ec1c
	s_mov_b64 s[14:15], 0x3ffc8d4844af141d
	v_fmaak_f64 v[6:7], v[14:15], v[2:3], 0xc0e2e3c92ce6c464
	v_add_f64_e32 v[2:3], 0xbffc8d4844af141d, v[14:15]
	s_delay_alu instid0(VALU_DEP_1) | instskip(NEXT) | instid1(VALU_DEP_1)
	v_div_scale_f64 v[18:19], null, v[2:3], v[2:3], s[14:15]
	v_rcp_f64_e32 v[34:35], v[18:19]
	v_nop
	s_delay_alu instid0(TRANS32_DEP_1) | instskip(NEXT) | instid1(VALU_DEP_1)
	v_fma_f64 v[48:49], -v[18:19], v[34:35], 1.0
	v_fmac_f64_e32 v[34:35], v[34:35], v[48:49]
	s_delay_alu instid0(VALU_DEP_1) | instskip(NEXT) | instid1(VALU_DEP_1)
	v_fma_f64 v[48:49], -v[18:19], v[34:35], 1.0
	v_fmac_f64_e32 v[34:35], v[34:35], v[48:49]
	v_div_scale_f64 v[48:49], vcc_lo, s[14:15], v[2:3], s[14:15]
	s_delay_alu instid0(VALU_DEP_1) | instskip(NEXT) | instid1(VALU_DEP_1)
	v_mul_f64_e32 v[50:51], v[48:49], v[34:35]
	v_fma_f64 v[18:19], -v[18:19], v[50:51], v[48:49]
	s_delay_alu instid0(VALU_DEP_1) | instskip(NEXT) | instid1(VALU_DEP_1)
	v_div_fmas_f64 v[18:19], v[18:19], v[34:35], v[50:51]
	v_div_fixup_f64 v[2:3], v[18:19], v[2:3], s[14:15]
	s_mov_b64 s[14:15], 0xc0707c0250eddf20
	s_delay_alu instid0(VALU_DEP_1) | instskip(SKIP_2) | instid1(VALU_DEP_1)
	v_fmac_f64_e32 v[2:3], v[6:7], v[30:31]
	v_fmaak_f64 v[6:7], s[14:15], v[14:15], 0x40c4649bc25f0059
	s_mov_b64 s[14:15], 0x401619f3b5c0b740
	v_fmaak_f64 v[18:19], v[14:15], v[6:7], 0xc0ff45e93f243651
	v_add_f64_e32 v[6:7], 0xc01619f3b5c0b740, v[14:15]
	s_delay_alu instid0(VALU_DEP_1) | instskip(NEXT) | instid1(VALU_DEP_1)
	v_div_scale_f64 v[34:35], null, v[6:7], v[6:7], s[14:15]
	v_rcp_f64_e32 v[48:49], v[34:35]
	v_nop
	s_delay_alu instid0(TRANS32_DEP_1) | instskip(NEXT) | instid1(VALU_DEP_1)
	v_fma_f64 v[50:51], -v[34:35], v[48:49], 1.0
	v_fmac_f64_e32 v[48:49], v[48:49], v[50:51]
	s_delay_alu instid0(VALU_DEP_1) | instskip(NEXT) | instid1(VALU_DEP_1)
	v_fma_f64 v[50:51], -v[34:35], v[48:49], 1.0
	v_fmac_f64_e32 v[48:49], v[48:49], v[50:51]
	v_div_scale_f64 v[50:51], vcc_lo, s[14:15], v[6:7], s[14:15]
	s_delay_alu instid0(VALU_DEP_1) | instskip(NEXT) | instid1(VALU_DEP_1)
	v_mul_f64_e32 v[52:53], v[50:51], v[48:49]
	v_fma_f64 v[34:35], -v[34:35], v[52:53], v[50:51]
	s_delay_alu instid0(VALU_DEP_1) | instskip(NEXT) | instid1(VALU_DEP_1)
	v_div_fmas_f64 v[34:35], v[34:35], v[48:49], v[52:53]
	v_div_fixup_f64 v[6:7], v[34:35], v[6:7], s[14:15]
	s_mov_b64 s[14:15], 0x3fc37d389f6d40b0
	s_delay_alu instid0(VALU_DEP_1) | instskip(SKIP_2) | instid1(SALU_CYCLE_1)
	v_fmac_f64_e32 v[6:7], v[18:19], v[30:31]
	v_fmaak_f64 v[18:19], s[14:15], v[14:15], 0xc0209cfd2a665401
	s_mov_b64 s[14:15], 0x404ec0edf24b69ff
	v_fmaak_f64 v[34:35], s[14:15], v[14:15], 0xc0a6cf9cea39dc39
	s_delay_alu instid0(VALU_DEP_2) | instskip(NEXT) | instid1(VALU_DEP_1)
	v_fmaak_f64 v[18:19], v[14:15], v[18:19], 0x40681f46993054c7
	v_fmaak_f64 v[18:19], v[14:15], v[18:19], 0xc09a37845cbf58d1
	s_delay_alu instid0(VALU_DEP_3) | instskip(NEXT) | instid1(VALU_DEP_2)
	v_fmaak_f64 v[14:15], v[14:15], v[34:35], 0x40e297edc516d25b
	v_mul_f64_e32 v[18:19], v[18:19], v[30:31]
	s_delay_alu instid0(VALU_DEP_2) | instskip(NEXT) | instid1(VALU_DEP_2)
	v_mul_f64_e32 v[14:15], v[14:15], v[30:31]
	v_fmamk_f64 v[18:19], v[4:5], 0x3f74efde4d84c79e, v[18:19]
	s_delay_alu instid0(VALU_DEP_2) | instskip(NEXT) | instid1(VALU_DEP_1)
	v_fmamk_f64 v[30:31], v[4:5], 0x3fc6af858329214a, v[14:15]
	v_add_f64_e64 v[4:5], v[4:5], -v[30:31]
	s_delay_alu instid0(VALU_DEP_1)
	v_add_f64_e64 v[4:5], v[4:5], -v[18:19]
.LBB0_97:
	s_or_b32 exec_lo, exec_lo, s0
.LBB0_98:
	s_delay_alu instid0(SALU_CYCLE_1)
	s_or_b32 exec_lo, exec_lo, s12
                                        ; implicit-def: $vgpr14_vgpr15
.LBB0_99:
	s_and_not1_saveexec_b32 s1, s11
	s_cbranch_execz .LBB0_105
; %bb.100:
                                        ; implicit-def: $vgpr30_vgpr31
                                        ; implicit-def: $vgpr2_vgpr3
                                        ; implicit-def: $vgpr0_vgpr1
	s_mov_b32 s0, exec_lo
	v_cmpx_ngt_f64_e32 0x40440000, v[14:15]
	s_xor_b32 s11, exec_lo, s0
	s_cbranch_execz .LBB0_102
; %bb.101:
	v_add_f64_e32 v[0:1], 0xbfd19dc7afdb7b47, v[14:15]
	v_add_f64_e32 v[2:3], 0xc005cc470a049083, v[14:15]
	s_mov_b64 s[12:13], 0x3fd19dc7afdb7b47
	s_mov_b64 s[14:15], 0x4005cc470a049083
	s_delay_alu instid0(VALU_DEP_2) | instskip(NEXT) | instid1(VALU_DEP_2)
	v_div_scale_f64 v[6:7], null, v[0:1], v[0:1], s[12:13]
	v_div_scale_f64 v[14:15], null, v[2:3], v[2:3], s[14:15]
	v_div_scale_f64 v[50:51], vcc_lo, s[12:13], v[0:1], s[12:13]
	s_delay_alu instid0(VALU_DEP_3) | instskip(NEXT) | instid1(VALU_DEP_2)
	v_rcp_f64_e32 v[18:19], v[6:7]
	v_rcp_f64_e32 v[30:31], v[14:15]
	s_delay_alu instid0(TRANS32_DEP_2) | instskip(NEXT) | instid1(TRANS32_DEP_1)
	v_fma_f64 v[34:35], -v[6:7], v[18:19], 1.0
	v_fma_f64 v[48:49], -v[14:15], v[30:31], 1.0
	s_delay_alu instid0(VALU_DEP_2) | instskip(NEXT) | instid1(VALU_DEP_2)
	v_fmac_f64_e32 v[18:19], v[18:19], v[34:35]
	v_fmac_f64_e32 v[30:31], v[30:31], v[48:49]
	s_delay_alu instid0(VALU_DEP_2) | instskip(NEXT) | instid1(VALU_DEP_2)
	v_fma_f64 v[34:35], -v[6:7], v[18:19], 1.0
	v_fma_f64 v[48:49], -v[14:15], v[30:31], 1.0
	s_delay_alu instid0(VALU_DEP_2) | instskip(SKIP_1) | instid1(VALU_DEP_3)
	v_fmac_f64_e32 v[18:19], v[18:19], v[34:35]
	v_div_scale_f64 v[34:35], s0, s[14:15], v[2:3], s[14:15]
	v_fmac_f64_e32 v[30:31], v[30:31], v[48:49]
	s_delay_alu instid0(VALU_DEP_3) | instskip(NEXT) | instid1(VALU_DEP_2)
	v_mul_f64_e32 v[48:49], v[50:51], v[18:19]
	v_mul_f64_e32 v[52:53], v[34:35], v[30:31]
	s_delay_alu instid0(VALU_DEP_2) | instskip(NEXT) | instid1(VALU_DEP_2)
	v_fma_f64 v[6:7], -v[6:7], v[48:49], v[50:51]
	v_fma_f64 v[14:15], -v[14:15], v[52:53], v[34:35]
	s_delay_alu instid0(VALU_DEP_2) | instskip(SKIP_1) | instid1(VALU_DEP_2)
	v_div_fmas_f64 v[6:7], v[6:7], v[18:19], v[48:49]
	s_mov_b32 vcc_lo, s0
	v_div_fmas_f64 v[14:15], v[14:15], v[30:31], v[52:53]
	v_mul_f64_e32 v[30:31], 0x3fb77d0a3fcf4f02, v[4:5]
	v_fmamk_f64 v[4:5], v[4:5], 0xbfb77d0a3fcf4f02, v[4:5]
	s_delay_alu instid0(VALU_DEP_4) | instskip(NEXT) | instid1(VALU_DEP_4)
	v_div_fixup_f64 v[0:1], v[6:7], v[0:1], s[12:13]
	v_div_fixup_f64 v[2:3], v[14:15], v[2:3], s[14:15]
                                        ; implicit-def: $vgpr14_vgpr15
.LBB0_102:
	s_and_not1_saveexec_b32 s11, s11
	s_cbranch_execz .LBB0_104
; %bb.103:
	v_add_f64_e32 v[0:1], 0xbfd19dc7afdb7b47, v[14:15]
	v_add_f64_e32 v[2:3], 0xc005cc470a049083, v[14:15]
	s_mov_b64 s[12:13], 0x3fd19dc7afdb7b47
	s_mov_b64 s[14:15], 0x4005cc470a049083
	v_mul_f64_e32 v[30:31], 0xbff71547652b82fe, v[14:15]
	s_mov_b64 s[16:17], 0xbfe62e42fefa39ef
	s_delay_alu instid0(VALU_DEP_3) | instskip(NEXT) | instid1(VALU_DEP_3)
	v_div_scale_f64 v[6:7], null, v[0:1], v[0:1], s[12:13]
	v_div_scale_f64 v[18:19], null, v[2:3], v[2:3], s[14:15]
	s_delay_alu instid0(VALU_DEP_3) | instskip(SKIP_1) | instid1(VALU_DEP_4)
	v_rndne_f64_e32 v[30:31], v[30:31]
	v_div_scale_f64 v[100:101], vcc_lo, s[12:13], v[0:1], s[12:13]
	v_rcp_f64_e32 v[34:35], v[6:7]
	s_delay_alu instid0(VALU_DEP_3) | instskip(NEXT) | instid1(VALU_DEP_2)
	v_rcp_f64_e32 v[48:49], v[18:19]
	v_fma_f64 v[54:55], v[30:31], s[16:17], -v[14:15]
	s_mov_b64 s[16:17], 0x3e5ade156a5dcb37
	v_cvt_i32_f64_e32 v112, v[30:31]
	s_delay_alu instid0(TRANS32_DEP_2) | instskip(NEXT) | instid1(TRANS32_DEP_1)
	v_fma_f64 v[50:51], -v[6:7], v[34:35], 1.0
	v_fma_f64 v[52:53], -v[18:19], v[48:49], 1.0
	s_delay_alu instid0(VALU_DEP_2) | instskip(SKIP_1) | instid1(VALU_DEP_3)
	v_fmac_f64_e32 v[34:35], v[34:35], v[50:51]
	v_fmamk_f64 v[50:51], v[30:31], 0xbc7abc9e3b39803f, v[54:55]
	v_fmac_f64_e32 v[48:49], v[48:49], v[52:53]
	s_delay_alu instid0(VALU_DEP_2) | instskip(SKIP_1) | instid1(VALU_DEP_1)
	v_fmaak_f64 v[52:53], s[16:17], v[50:51], 0x3e928af3fca7ab0c
	s_mov_b64 s[16:17], 0x4011dfd1d5aa3881
	v_fmaak_f64 v[52:53], v[50:51], v[52:53], 0x3ec71dee623fde64
	s_delay_alu instid0(VALU_DEP_1) | instskip(NEXT) | instid1(VALU_DEP_1)
	v_fmaak_f64 v[52:53], v[50:51], v[52:53], 0x3efa01997c89e6b0
	v_fmaak_f64 v[52:53], v[50:51], v[52:53], 0x3f2a01a014761f6e
	v_fma_f64 v[54:55], -v[6:7], v[34:35], 1.0
	v_fma_f64 v[98:99], -v[18:19], v[48:49], 1.0
	s_delay_alu instid0(VALU_DEP_3) | instskip(NEXT) | instid1(VALU_DEP_1)
	v_fmaak_f64 v[52:53], v[50:51], v[52:53], 0x3f56c16c1852b7b0
	v_fmaak_f64 v[52:53], v[50:51], v[52:53], 0x3f81111111122322
	s_delay_alu instid0(VALU_DEP_1) | instskip(NEXT) | instid1(VALU_DEP_1)
	v_fmaak_f64 v[52:53], v[50:51], v[52:53], 0x3fa55555555502a1
	v_fmaak_f64 v[52:53], v[50:51], v[52:53], 0x3fc5555555555511
	s_delay_alu instid0(VALU_DEP_1) | instskip(SKIP_3) | instid1(VALU_DEP_4)
	v_fmaak_f64 v[52:53], v[50:51], v[52:53], 0x3fe000000000000b
	v_fmac_f64_e32 v[34:35], v[34:35], v[54:55]
	v_div_scale_f64 v[54:55], s0, s[14:15], v[2:3], s[14:15]
	v_fmac_f64_e32 v[48:49], v[48:49], v[98:99]
	v_fma_f64 v[52:53], v[50:51], v[52:53], 1.0
	s_delay_alu instid0(VALU_DEP_4) | instskip(NEXT) | instid1(VALU_DEP_3)
	v_mul_f64_e32 v[98:99], v[100:101], v[34:35]
	v_mul_f64_e32 v[102:103], v[54:55], v[48:49]
	s_delay_alu instid0(VALU_DEP_3) | instskip(NEXT) | instid1(VALU_DEP_3)
	v_fma_f64 v[30:31], v[50:51], v[52:53], 1.0
	v_fma_f64 v[6:7], -v[6:7], v[98:99], v[100:101]
	s_delay_alu instid0(VALU_DEP_3) | instskip(NEXT) | instid1(VALU_DEP_3)
	v_fma_f64 v[18:19], -v[18:19], v[102:103], v[54:55]
	v_ldexp_f64 v[50:51], v[30:31], v112
	v_fmaak_f64 v[30:31], s[16:17], v[14:15], 0xc0537b3445480ba2
	s_delay_alu instid0(VALU_DEP_4) | instskip(SKIP_1) | instid1(VALU_DEP_4)
	v_div_fmas_f64 v[6:7], v[6:7], v[34:35], v[98:99]
	s_mov_b32 vcc_lo, s0
	v_div_fmas_f64 v[18:19], v[18:19], v[48:49], v[102:103]
	s_delay_alu instid0(VALU_DEP_3) | instskip(NEXT) | instid1(VALU_DEP_3)
	v_mul_f64_e32 v[30:31], v[30:31], v[50:51]
	v_div_fixup_f64 v[0:1], v[6:7], v[0:1], s[12:13]
	s_mov_b64 s[12:13], 0xbfec20561a93ada1
	s_delay_alu instid0(VALU_DEP_3) | instskip(SKIP_4) | instid1(VALU_DEP_1)
	v_div_fixup_f64 v[2:3], v[18:19], v[2:3], s[14:15]
	s_mov_b64 s[14:15], 0xc02293fcf39dd3e0
	v_fmaak_f64 v[6:7], s[12:13], v[14:15], 0x4025d9470e207c6a
	v_fmaak_f64 v[14:15], s[14:15], v[14:15], 0x4054441c749a077d
	v_fmamk_f64 v[30:31], v[4:5], 0x3fb77d0a3fcf4f02, v[30:31]
	v_add_f64_e64 v[4:5], v[4:5], -v[30:31]
	s_delay_alu instid0(VALU_DEP_4) | instskip(NEXT) | instid1(VALU_DEP_4)
	v_fmac_f64_e32 v[0:1], v[6:7], v[50:51]
	v_fmac_f64_e32 v[2:3], v[14:15], v[50:51]
.LBB0_104:
	s_or_b32 exec_lo, exec_lo, s11
	v_mov_b64_e32 v[18:19], 0
	v_mov_b64_e32 v[6:7], 0
.LBB0_105:
	s_or_b32 exec_lo, exec_lo, s1
                                        ; implicit-def: $vgpr14_vgpr15
.LBB0_106:
	s_and_not1_saveexec_b32 s0, s10
	s_cbranch_execz .LBB0_110
; %bb.107:
	scratch_load_b32 v2, off, s33 offset:744 ; 4-byte Folded Reload
	v_mov_b64_e32 v[18:19], 0
	v_mov_b64_e32 v[0:1], 0
	s_mov_b32 s1, exec_lo
	s_wait_loadcnt 0x0
	v_cmpx_eq_u32_e32 0, v2
	s_cbranch_execz .LBB0_109
; %bb.108:
	v_add_f64_e32 v[0:1], -0.5, v[14:15]
	s_delay_alu instid0(VALU_DEP_1) | instskip(NEXT) | instid1(VALU_DEP_1)
	v_div_scale_f64 v[2:3], null, v[0:1], v[0:1], 0.5
	v_rcp_f64_e32 v[6:7], v[2:3]
	v_nop
	s_delay_alu instid0(TRANS32_DEP_1) | instskip(NEXT) | instid1(VALU_DEP_1)
	v_fma_f64 v[14:15], -v[2:3], v[6:7], 1.0
	v_fmac_f64_e32 v[6:7], v[6:7], v[14:15]
	s_delay_alu instid0(VALU_DEP_1) | instskip(NEXT) | instid1(VALU_DEP_1)
	v_fma_f64 v[14:15], -v[2:3], v[6:7], 1.0
	v_fmac_f64_e32 v[6:7], v[6:7], v[14:15]
	v_div_scale_f64 v[14:15], vcc_lo, 0.5, v[0:1], 0.5
	s_delay_alu instid0(VALU_DEP_1) | instskip(NEXT) | instid1(VALU_DEP_1)
	v_mul_f64_e32 v[30:31], v[14:15], v[6:7]
	v_fma_f64 v[2:3], -v[2:3], v[30:31], v[14:15]
	s_delay_alu instid0(VALU_DEP_1) | instskip(NEXT) | instid1(VALU_DEP_1)
	v_div_fmas_f64 v[2:3], v[2:3], v[6:7], v[30:31]
	v_div_fixup_f64 v[0:1], v[2:3], v[0:1], 0.5
.LBB0_109:
	s_or_b32 exec_lo, exec_lo, s1
	v_mov_b64_e32 v[30:31], 0
	v_mov_b64_e32 v[6:7], 0
	;; [unrolled: 1-line block ×3, first 2 shown]
.LBB0_110:
	s_or_b32 exec_lo, exec_lo, s0
                                        ; implicit-def: $vgpr14_vgpr15
.LBB0_111:
	s_and_not1_saveexec_b32 s9, s9
	s_cbranch_execz .LBB0_129
; %bb.112:
	s_mov_b64 s[0:1], 0x3fc91e26b4d0174d
	s_mov_b64 s[10:11], 0x3fe921fb54442d15
	v_div_scale_f64 v[0:1], null, v[14:15], v[14:15], s[0:1]
	v_div_scale_f64 v[6:7], vcc_lo, s[0:1], v[14:15], s[0:1]
	s_delay_alu instid0(VALU_DEP_2) | instskip(SKIP_1) | instid1(TRANS32_DEP_1)
	v_rcp_f64_e32 v[2:3], v[0:1]
	v_nop
	v_fma_f64 v[4:5], -v[0:1], v[2:3], 1.0
	s_delay_alu instid0(VALU_DEP_1) | instskip(NEXT) | instid1(VALU_DEP_1)
	v_fmac_f64_e32 v[2:3], v[2:3], v[4:5]
	v_fma_f64 v[4:5], -v[0:1], v[2:3], 1.0
	s_delay_alu instid0(VALU_DEP_1) | instskip(NEXT) | instid1(VALU_DEP_1)
	v_fmac_f64_e32 v[2:3], v[2:3], v[4:5]
	v_mul_f64_e32 v[4:5], v[6:7], v[2:3]
	s_delay_alu instid0(VALU_DEP_1) | instskip(NEXT) | instid1(VALU_DEP_1)
	v_fma_f64 v[0:1], -v[0:1], v[4:5], v[6:7]
	v_div_fmas_f64 v[0:1], v[0:1], v[2:3], v[4:5]
	v_div_scale_f64 v[4:5], null, v[14:15], v[14:15], s[10:11]
	s_delay_alu instid0(VALU_DEP_2) | instskip(NEXT) | instid1(VALU_DEP_2)
	v_div_fixup_f64 v[0:1], v[0:1], v[14:15], s[0:1]
	v_rcp_f64_e32 v[18:19], v[4:5]
	s_delay_alu instid0(VALU_DEP_1) | instskip(NEXT) | instid1(TRANS32_DEP_1)
	v_add_f64_e32 v[0:1], 0xbfdfce1180245b5f, v[0:1]
	v_fma_f64 v[34:35], -v[4:5], v[18:19], 1.0
	s_delay_alu instid0(VALU_DEP_2) | instskip(SKIP_1) | instid1(VALU_DEP_3)
	v_div_scale_f64 v[2:3], null, v[14:15], v[14:15], v[0:1]
	v_div_scale_f64 v[48:49], vcc_lo, v[0:1], v[14:15], v[0:1]
	v_fmac_f64_e32 v[18:19], v[18:19], v[34:35]
	s_delay_alu instid0(VALU_DEP_3) | instskip(NEXT) | instid1(VALU_DEP_1)
	v_rcp_f64_e32 v[6:7], v[2:3]
	v_fma_f64 v[34:35], -v[4:5], v[18:19], 1.0
	s_delay_alu instid0(TRANS32_DEP_1) | instskip(NEXT) | instid1(VALU_DEP_2)
	v_fma_f64 v[30:31], -v[2:3], v[6:7], 1.0
	v_fmac_f64_e32 v[18:19], v[18:19], v[34:35]
	s_delay_alu instid0(VALU_DEP_2) | instskip(NEXT) | instid1(VALU_DEP_1)
	v_fmac_f64_e32 v[6:7], v[6:7], v[30:31]
	v_fma_f64 v[30:31], -v[2:3], v[6:7], 1.0
	s_delay_alu instid0(VALU_DEP_1) | instskip(SKIP_1) | instid1(VALU_DEP_2)
	v_fmac_f64_e32 v[6:7], v[6:7], v[30:31]
	v_div_scale_f64 v[30:31], s0, s[10:11], v[14:15], s[10:11]
	v_mul_f64_e32 v[34:35], v[48:49], v[6:7]
	s_delay_alu instid0(VALU_DEP_2) | instskip(NEXT) | instid1(VALU_DEP_2)
	v_mul_f64_e32 v[50:51], v[30:31], v[18:19]
	v_fma_f64 v[2:3], -v[2:3], v[34:35], v[48:49]
	s_delay_alu instid0(VALU_DEP_2) | instskip(NEXT) | instid1(VALU_DEP_2)
	v_fma_f64 v[4:5], -v[4:5], v[50:51], v[30:31]
	v_div_fmas_f64 v[2:3], v[2:3], v[6:7], v[34:35]
	s_mov_b32 vcc_lo, s0
	s_mov_b64 s[0:1], 0xbfe62e42fefa39ef
	s_delay_alu instid0(VALU_DEP_2) | instskip(SKIP_1) | instid1(VALU_DEP_3)
	v_div_fmas_f64 v[4:5], v[4:5], v[18:19], v[50:51]
	v_mul_f64_e32 v[18:19], 0xbff71547652b82fe, v[14:15]
	v_div_fixup_f64 v[0:1], v[2:3], v[14:15], v[0:1]
	s_delay_alu instid0(VALU_DEP_3) | instskip(NEXT) | instid1(VALU_DEP_3)
	v_div_fixup_f64 v[4:5], v[4:5], v[14:15], s[10:11]
	v_rndne_f64_e32 v[18:19], v[18:19]
	s_delay_alu instid0(VALU_DEP_3) | instskip(NEXT) | instid1(VALU_DEP_3)
	v_add_f64_e32 v[0:1], 0xbf0f8a146403a8cf, v[0:1]
	v_cmp_gt_f64_e32 vcc_lo, 0x10000000, v[4:5]
	s_delay_alu instid0(VALU_DEP_3) | instskip(SKIP_3) | instid1(VALU_DEP_3)
	v_fma_f64 v[48:49], v[18:19], s[0:1], -v[14:15]
	s_mov_b64 s[0:1], 0x3e5ade156a5dcb37
	v_cndmask_b32_e64 v6, 0, 0x100, vcc_lo
	v_cndmask_b32_e64 v2, 0, 0xffffff80, vcc_lo
	v_fmamk_f64 v[48:49], v[18:19], 0xbc7abc9e3b39803f, v[48:49]
	v_cvt_i32_f64_e32 v18, v[18:19]
	s_delay_alu instid0(VALU_DEP_4) | instskip(NEXT) | instid1(VALU_DEP_3)
	v_ldexp_f64 v[4:5], v[4:5], v6
	v_fmaak_f64 v[50:51], s[0:1], v[48:49], 0x3e928af3fca7ab0c
	s_delay_alu instid0(VALU_DEP_1) | instskip(NEXT) | instid1(VALU_DEP_1)
	v_fmaak_f64 v[50:51], v[48:49], v[50:51], 0x3ec71dee623fde64
	v_fmaak_f64 v[50:51], v[48:49], v[50:51], 0x3efa01997c89e6b0
	s_delay_alu instid0(VALU_DEP_1) | instskip(SKIP_2) | instid1(TRANS32_DEP_1)
	v_fmaak_f64 v[50:51], v[48:49], v[50:51], 0x3f2a01a014761f6e
	v_rsq_f64_e32 v[6:7], v[4:5]
	v_cmp_class_f64_e64 vcc_lo, v[4:5], 0x260
	v_mul_f64_e32 v[30:31], v[4:5], v[6:7]
	v_mul_f64_e32 v[6:7], 0.5, v[6:7]
	s_delay_alu instid0(VALU_DEP_1) | instskip(NEXT) | instid1(VALU_DEP_1)
	v_fma_f64 v[34:35], -v[6:7], v[30:31], 0.5
	v_fmac_f64_e32 v[30:31], v[30:31], v[34:35]
	v_fmac_f64_e32 v[6:7], v[6:7], v[34:35]
	s_delay_alu instid0(VALU_DEP_2) | instskip(NEXT) | instid1(VALU_DEP_1)
	v_fma_f64 v[34:35], -v[30:31], v[30:31], v[4:5]
	v_fmac_f64_e32 v[30:31], v[34:35], v[6:7]
	v_fmaak_f64 v[34:35], v[48:49], v[50:51], 0x3f56c16c1852b7b0
	s_delay_alu instid0(VALU_DEP_1) | instskip(NEXT) | instid1(VALU_DEP_1)
	v_fmaak_f64 v[34:35], v[48:49], v[34:35], 0x3f81111111122322
	v_fmaak_f64 v[34:35], v[48:49], v[34:35], 0x3fa55555555502a1
	s_delay_alu instid0(VALU_DEP_1) | instskip(NEXT) | instid1(VALU_DEP_1)
	v_fmaak_f64 v[34:35], v[48:49], v[34:35], 0x3fc5555555555511
	v_fmaak_f64 v[34:35], v[48:49], v[34:35], 0x3fe000000000000b
	v_fma_f64 v[50:51], -v[30:31], v[30:31], v[4:5]
	s_delay_alu instid0(VALU_DEP_2) | instskip(NEXT) | instid1(VALU_DEP_2)
	v_fma_f64 v[34:35], v[48:49], v[34:35], 1.0
	v_fmac_f64_e32 v[30:31], v[50:51], v[6:7]
	v_add_f64_e32 v[50:51], v[14:15], v[14:15]
	s_delay_alu instid0(VALU_DEP_3) | instskip(NEXT) | instid1(VALU_DEP_3)
	v_fma_f64 v[6:7], v[48:49], v[34:35], 1.0
	v_ldexp_f64 v[2:3], v[30:31], v2
	s_delay_alu instid0(VALU_DEP_2) | instskip(NEXT) | instid1(VALU_DEP_2)
	v_ldexp_f64 v[48:49], v[6:7], v18
	v_dual_cndmask_b32 v5, v3, v5 :: v_dual_cndmask_b32 v4, v2, v4
	s_delay_alu instid0(VALU_DEP_1) | instskip(NEXT) | instid1(VALU_DEP_1)
	v_fmac_f64_e32 v[4:5], v[0:1], v[48:49]
	v_add_f64_e64 v[0:1], v[4:5], -v[48:49]
	s_delay_alu instid0(VALU_DEP_1) | instskip(NEXT) | instid1(VALU_DEP_1)
	v_div_scale_f64 v[2:3], null, v[50:51], v[50:51], v[0:1]
	v_rcp_f64_e32 v[6:7], v[2:3]
	v_nop
	s_delay_alu instid0(TRANS32_DEP_1) | instskip(NEXT) | instid1(VALU_DEP_1)
	v_fma_f64 v[18:19], -v[2:3], v[6:7], 1.0
	v_fmac_f64_e32 v[6:7], v[6:7], v[18:19]
	s_delay_alu instid0(VALU_DEP_1) | instskip(NEXT) | instid1(VALU_DEP_1)
	v_fma_f64 v[18:19], -v[2:3], v[6:7], 1.0
	v_fmac_f64_e32 v[6:7], v[6:7], v[18:19]
	v_div_scale_f64 v[18:19], vcc_lo, v[0:1], v[50:51], v[0:1]
	s_delay_alu instid0(VALU_DEP_1) | instskip(NEXT) | instid1(VALU_DEP_1)
	v_mul_f64_e32 v[30:31], v[18:19], v[6:7]
	v_fma_f64 v[2:3], -v[2:3], v[30:31], v[18:19]
                                        ; implicit-def: $vgpr18_vgpr19
	s_delay_alu instid0(VALU_DEP_1) | instskip(NEXT) | instid1(VALU_DEP_1)
	v_div_fmas_f64 v[2:3], v[2:3], v[6:7], v[30:31]
                                        ; implicit-def: $vgpr30_vgpr31
                                        ; implicit-def: $vgpr6_vgpr7
	v_div_fixup_f64 v[34:35], v[2:3], v[50:51], v[0:1]
	scratch_load_b32 v0, off, s33 offset:744 ; 4-byte Folded Reload
                                        ; implicit-def: $vgpr2_vgpr3
	s_wait_loadcnt 0x0
	v_cmp_lt_i32_e32 vcc_lo, 0, v0
                                        ; implicit-def: $vgpr0_vgpr1
	s_wait_xcnt 0x0
	s_and_saveexec_b32 s0, vcc_lo
	s_delay_alu instid0(SALU_CYCLE_1)
	s_xor_b32 s10, exec_lo, s0
	s_cbranch_execz .LBB0_124
; %bb.113:
	scratch_load_b32 v0, off, s33 offset:744 ; 4-byte Folded Reload
                                        ; implicit-def: $vgpr18_vgpr19
                                        ; implicit-def: $vgpr30_vgpr31
                                        ; implicit-def: $vgpr6_vgpr7
                                        ; implicit-def: $vgpr2_vgpr3
	s_wait_loadcnt 0x0
	v_cmp_lt_i32_e32 vcc_lo, 1, v0
                                        ; implicit-def: $vgpr0_vgpr1
	s_wait_xcnt 0x0
	s_and_saveexec_b32 s0, vcc_lo
	s_delay_alu instid0(SALU_CYCLE_1)
	s_xor_b32 s11, exec_lo, s0
	s_cbranch_execz .LBB0_121
; %bb.114:
	scratch_load_b32 v52, off, s33 offset:744 ; 4-byte Folded Reload
	v_mov_b64_e32 v[18:19], 0
	v_mov_b64_e32 v[30:31], 0
	;; [unrolled: 1-line block ×5, first 2 shown]
	s_mov_b32 s12, exec_lo
	s_wait_loadcnt 0x0
	v_cmpx_eq_u32_e32 2, v52
	s_cbranch_execz .LBB0_120
; %bb.115:
                                        ; implicit-def: $vgpr2_vgpr3
                                        ; implicit-def: $vgpr0_vgpr1
                                        ; implicit-def: $vgpr30_vgpr31
	s_mov_b32 s0, exec_lo
	v_cmpx_ngt_f64_e32 0x40340000, v[14:15]
	s_xor_b32 s13, exec_lo, s0
	s_cbranch_execz .LBB0_117
; %bb.116:
	s_mov_b64 s[0:1], 0xbf404dd943c565e2
	s_delay_alu instid0(SALU_CYCLE_1) | instskip(SKIP_1) | instid1(SALU_CYCLE_1)
	v_fmaak_f64 v[0:1], s[0:1], v[14:15], 0xbfa9a5c8d1a1d69c
	s_mov_b64 s[0:1], 0xc084a2c20ea14de2
	v_div_scale_f64 v[2:3], null, v[14:15], v[14:15], s[0:1]
	s_delay_alu instid0(VALU_DEP_2) | instskip(NEXT) | instid1(VALU_DEP_1)
	v_fmaak_f64 v[0:1], v[14:15], v[0:1], 0x3ff4f9d2244805bc
	v_fmaak_f64 v[0:1], v[14:15], v[0:1], 0xc032d5697dd2f38c
	s_delay_alu instid0(VALU_DEP_3) | instskip(SKIP_1) | instid1(TRANS32_DEP_1)
	v_rcp_f64_e32 v[6:7], v[2:3]
	v_nop
	v_fma_f64 v[18:19], -v[2:3], v[6:7], 1.0
	s_delay_alu instid0(VALU_DEP_1) | instskip(NEXT) | instid1(VALU_DEP_1)
	v_fmac_f64_e32 v[6:7], v[6:7], v[18:19]
	v_fma_f64 v[18:19], -v[2:3], v[6:7], 1.0
	s_delay_alu instid0(VALU_DEP_1) | instskip(SKIP_1) | instid1(VALU_DEP_1)
	v_fmac_f64_e32 v[6:7], v[6:7], v[18:19]
	v_div_scale_f64 v[18:19], vcc_lo, s[0:1], v[14:15], s[0:1]
	v_mul_f64_e32 v[30:31], v[18:19], v[6:7]
	s_delay_alu instid0(VALU_DEP_1) | instskip(NEXT) | instid1(VALU_DEP_1)
	v_fma_f64 v[2:3], -v[2:3], v[30:31], v[18:19]
	v_div_fmas_f64 v[2:3], v[2:3], v[6:7], v[30:31]
	s_delay_alu instid0(VALU_DEP_1) | instskip(SKIP_1) | instid1(VALU_DEP_1)
	v_div_fixup_f64 v[2:3], v[2:3], v[14:15], s[0:1]
	s_mov_b64 s[0:1], 0x3fc85747227076b0
	v_fmac_f64_e32 v[2:3], v[14:15], v[0:1]
	v_add_f64_e32 v[0:1], 0xbfc85747227076b0, v[14:15]
	s_delay_alu instid0(VALU_DEP_2) | instskip(NEXT) | instid1(VALU_DEP_2)
	v_add_f64_e32 v[2:3], 0x40649dce8a43a1c2, v[2:3]
	v_div_scale_f64 v[6:7], null, v[0:1], v[0:1], s[0:1]
	s_delay_alu instid0(VALU_DEP_1) | instskip(SKIP_1) | instid1(TRANS32_DEP_1)
	v_rcp_f64_e32 v[18:19], v[6:7]
	v_nop
	v_fma_f64 v[30:31], -v[6:7], v[18:19], 1.0
	s_delay_alu instid0(VALU_DEP_1) | instskip(NEXT) | instid1(VALU_DEP_1)
	v_fmac_f64_e32 v[18:19], v[18:19], v[30:31]
	v_fma_f64 v[30:31], -v[6:7], v[18:19], 1.0
	s_delay_alu instid0(VALU_DEP_1) | instskip(SKIP_1) | instid1(VALU_DEP_1)
	v_fmac_f64_e32 v[18:19], v[18:19], v[30:31]
	v_div_scale_f64 v[30:31], vcc_lo, s[0:1], v[0:1], s[0:1]
	v_mul_f64_e32 v[52:53], v[30:31], v[18:19]
	s_delay_alu instid0(VALU_DEP_1) | instskip(NEXT) | instid1(VALU_DEP_1)
	v_fma_f64 v[6:7], -v[6:7], v[52:53], v[30:31]
	v_div_fmas_f64 v[6:7], v[6:7], v[18:19], v[52:53]
	s_delay_alu instid0(VALU_DEP_1) | instskip(SKIP_1) | instid1(VALU_DEP_1)
	v_div_fixup_f64 v[0:1], v[6:7], v[0:1], s[0:1]
	s_mov_b64 s[0:1], 0xbf725bea71a9f002
	v_fmac_f64_e32 v[0:1], v[2:3], v[48:49]
	v_fmaak_f64 v[2:3], s[0:1], v[14:15], 0xbfe08e5243d051e1
	s_mov_b64 s[0:1], 0xc0b8a5175c9c2ca2
	s_delay_alu instid0(SALU_CYCLE_1) | instskip(NEXT) | instid1(VALU_DEP_2)
	v_div_scale_f64 v[6:7], null, v[14:15], v[14:15], s[0:1]
	v_fmaak_f64 v[2:3], v[14:15], v[2:3], 0x4026bcfb71f2e80a
	s_delay_alu instid0(VALU_DEP_1) | instskip(NEXT) | instid1(VALU_DEP_3)
	v_fmaak_f64 v[2:3], v[14:15], v[2:3], 0xc064ada502b1324d
	v_rcp_f64_e32 v[18:19], v[6:7]
	v_nop
	s_delay_alu instid0(TRANS32_DEP_1) | instskip(NEXT) | instid1(VALU_DEP_1)
	v_fma_f64 v[30:31], -v[6:7], v[18:19], 1.0
	v_fmac_f64_e32 v[18:19], v[18:19], v[30:31]
	s_delay_alu instid0(VALU_DEP_1) | instskip(NEXT) | instid1(VALU_DEP_1)
	v_fma_f64 v[30:31], -v[6:7], v[18:19], 1.0
	v_fmac_f64_e32 v[18:19], v[18:19], v[30:31]
	v_div_scale_f64 v[30:31], vcc_lo, s[0:1], v[14:15], s[0:1]
	s_delay_alu instid0(VALU_DEP_1) | instskip(NEXT) | instid1(VALU_DEP_1)
	v_mul_f64_e32 v[52:53], v[30:31], v[18:19]
	v_fma_f64 v[6:7], -v[6:7], v[52:53], v[30:31]
	s_delay_alu instid0(VALU_DEP_1) | instskip(NEXT) | instid1(VALU_DEP_1)
	v_div_fmas_f64 v[6:7], v[6:7], v[18:19], v[52:53]
	v_div_fixup_f64 v[6:7], v[6:7], v[14:15], s[0:1]
	s_mov_b64 s[0:1], 0x3ffc8d4844af141d
	s_delay_alu instid0(VALU_DEP_1) | instskip(SKIP_1) | instid1(VALU_DEP_2)
	v_fmac_f64_e32 v[6:7], v[14:15], v[2:3]
	v_add_f64_e32 v[2:3], 0xbffc8d4844af141d, v[14:15]
	v_add_f64_e32 v[6:7], 0x4097c94532ede694, v[6:7]
	s_delay_alu instid0(VALU_DEP_2) | instskip(NEXT) | instid1(VALU_DEP_1)
	v_div_scale_f64 v[18:19], null, v[2:3], v[2:3], s[0:1]
	v_rcp_f64_e32 v[30:31], v[18:19]
	v_nop
	s_delay_alu instid0(TRANS32_DEP_1) | instskip(NEXT) | instid1(VALU_DEP_1)
	v_fma_f64 v[52:53], -v[18:19], v[30:31], 1.0
	v_fmac_f64_e32 v[30:31], v[30:31], v[52:53]
	s_delay_alu instid0(VALU_DEP_1) | instskip(NEXT) | instid1(VALU_DEP_1)
	v_fma_f64 v[52:53], -v[18:19], v[30:31], 1.0
	v_fmac_f64_e32 v[30:31], v[30:31], v[52:53]
	v_div_scale_f64 v[52:53], vcc_lo, s[0:1], v[2:3], s[0:1]
	s_delay_alu instid0(VALU_DEP_1) | instskip(NEXT) | instid1(VALU_DEP_1)
	v_mul_f64_e32 v[54:55], v[52:53], v[30:31]
	v_fma_f64 v[18:19], -v[18:19], v[54:55], v[52:53]
	s_delay_alu instid0(VALU_DEP_1) | instskip(NEXT) | instid1(VALU_DEP_1)
	v_div_fmas_f64 v[18:19], v[18:19], v[30:31], v[54:55]
	v_div_fixup_f64 v[2:3], v[18:19], v[2:3], s[0:1]
	s_mov_b64 s[0:1], 0xbf8c567ff1a94fb7
	s_delay_alu instid0(VALU_DEP_1) | instskip(SKIP_2) | instid1(SALU_CYCLE_1)
	v_fmac_f64_e32 v[2:3], v[6:7], v[48:49]
	v_fmaak_f64 v[6:7], s[0:1], v[14:15], 0xbffc5df05839f8b4
	s_mov_b64 s[0:1], 0xc0cc76bc2c8d13df
	v_div_scale_f64 v[30:31], null, v[14:15], v[14:15], s[0:1]
	s_delay_alu instid0(VALU_DEP_2) | instskip(NEXT) | instid1(VALU_DEP_1)
	v_fmaak_f64 v[6:7], v[14:15], v[6:7], 0x40315d28e792fa1f
	v_fmaak_f64 v[6:7], v[14:15], v[6:7], 0xc07659d78a41e8b7
	s_delay_alu instid0(VALU_DEP_3) | instskip(SKIP_1) | instid1(TRANS32_DEP_1)
	v_rcp_f64_e32 v[18:19], v[30:31]
	v_nop
	v_fma_f64 v[52:53], -v[30:31], v[18:19], 1.0
	s_delay_alu instid0(VALU_DEP_1) | instskip(NEXT) | instid1(VALU_DEP_1)
	v_fmac_f64_e32 v[18:19], v[18:19], v[52:53]
	v_fma_f64 v[52:53], -v[30:31], v[18:19], 1.0
	s_delay_alu instid0(VALU_DEP_1) | instskip(SKIP_1) | instid1(VALU_DEP_1)
	v_fmac_f64_e32 v[18:19], v[18:19], v[52:53]
	v_div_scale_f64 v[52:53], vcc_lo, s[0:1], v[14:15], s[0:1]
	v_mul_f64_e32 v[54:55], v[52:53], v[18:19]
	s_delay_alu instid0(VALU_DEP_1) | instskip(NEXT) | instid1(VALU_DEP_1)
	v_fma_f64 v[30:31], -v[30:31], v[54:55], v[52:53]
	v_div_fmas_f64 v[18:19], v[30:31], v[18:19], v[54:55]
	s_delay_alu instid0(VALU_DEP_1) | instskip(NEXT) | instid1(VALU_DEP_1)
	v_div_fixup_f64 v[18:19], v[18:19], v[14:15], s[0:1]
	v_fmac_f64_e32 v[18:19], v[14:15], v[6:7]
	s_delay_alu instid0(VALU_DEP_1)
	v_add_f64_e32 v[30:31], 0x40a514a2e32ed6f6, v[18:19]
.LBB0_117:
	s_and_not1_saveexec_b32 s0, s13
	s_cbranch_execz .LBB0_119
; %bb.118:
	s_mov_b64 s[14:15], 0xbec468346916718b
	s_delay_alu instid0(SALU_CYCLE_1) | instskip(SKIP_1) | instid1(SALU_CYCLE_1)
	v_fmaak_f64 v[0:1], s[14:15], v[14:15], 0x3f377496cdc8f5a5
	s_mov_b64 s[14:15], 0xc0d34c49ddb8407a
	v_div_scale_f64 v[2:3], null, v[14:15], v[14:15], s[14:15]
	s_delay_alu instid0(VALU_DEP_2) | instskip(NEXT) | instid1(VALU_DEP_1)
	v_fmaak_f64 v[0:1], v[14:15], v[0:1], 0xbf97f91dd417330e
	v_fmaak_f64 v[0:1], v[14:15], v[0:1], 0x3fe9016f4e35aec3
	s_delay_alu instid0(VALU_DEP_1) | instskip(NEXT) | instid1(VALU_DEP_1)
	v_fmaak_f64 v[0:1], v[14:15], v[0:1], 0xc0315227eeb9b55a
	v_fmaak_f64 v[0:1], v[14:15], v[0:1], 0x406e708ed54b015d
	v_rcp_f64_e32 v[6:7], v[2:3]
	v_nop
	s_delay_alu instid0(TRANS32_DEP_1) | instskip(NEXT) | instid1(VALU_DEP_1)
	v_fma_f64 v[18:19], -v[2:3], v[6:7], 1.0
	v_fmac_f64_e32 v[6:7], v[6:7], v[18:19]
	s_delay_alu instid0(VALU_DEP_1) | instskip(NEXT) | instid1(VALU_DEP_1)
	v_fma_f64 v[18:19], -v[2:3], v[6:7], 1.0
	v_fmac_f64_e32 v[6:7], v[6:7], v[18:19]
	v_div_scale_f64 v[18:19], vcc_lo, s[14:15], v[14:15], s[14:15]
	s_delay_alu instid0(VALU_DEP_1) | instskip(NEXT) | instid1(VALU_DEP_1)
	v_mul_f64_e32 v[30:31], v[18:19], v[6:7]
	v_fma_f64 v[2:3], -v[2:3], v[30:31], v[18:19]
	s_delay_alu instid0(VALU_DEP_1) | instskip(NEXT) | instid1(VALU_DEP_1)
	v_div_fmas_f64 v[2:3], v[2:3], v[6:7], v[30:31]
	v_div_fixup_f64 v[2:3], v[2:3], v[14:15], s[14:15]
	s_mov_b64 s[14:15], 0x3fc85747227076b0
	s_delay_alu instid0(VALU_DEP_1) | instskip(NEXT) | instid1(VALU_DEP_1)
	v_add_f64_e32 v[2:3], 0x40c33034f1fad81f, v[2:3]
	v_div_scale_f64 v[6:7], null, v[14:15], v[14:15], v[2:3]
	s_delay_alu instid0(VALU_DEP_1) | instskip(SKIP_1) | instid1(TRANS32_DEP_1)
	v_rcp_f64_e32 v[18:19], v[6:7]
	v_nop
	v_fma_f64 v[30:31], -v[6:7], v[18:19], 1.0
	s_delay_alu instid0(VALU_DEP_1) | instskip(NEXT) | instid1(VALU_DEP_1)
	v_fmac_f64_e32 v[18:19], v[18:19], v[30:31]
	v_fma_f64 v[30:31], -v[6:7], v[18:19], 1.0
	s_delay_alu instid0(VALU_DEP_1) | instskip(SKIP_1) | instid1(VALU_DEP_1)
	v_fmac_f64_e32 v[18:19], v[18:19], v[30:31]
	v_div_scale_f64 v[30:31], vcc_lo, v[2:3], v[14:15], v[2:3]
	v_mul_f64_e32 v[52:53], v[30:31], v[18:19]
	s_delay_alu instid0(VALU_DEP_1) | instskip(NEXT) | instid1(VALU_DEP_1)
	v_fma_f64 v[6:7], -v[6:7], v[52:53], v[30:31]
	v_div_fmas_f64 v[6:7], v[6:7], v[18:19], v[52:53]
	s_delay_alu instid0(VALU_DEP_1) | instskip(NEXT) | instid1(VALU_DEP_1)
	v_div_fixup_f64 v[2:3], v[6:7], v[14:15], v[2:3]
	v_fmac_f64_e32 v[2:3], v[14:15], v[0:1]
	v_add_f64_e32 v[0:1], 0xbfc85747227076b0, v[14:15]
	s_delay_alu instid0(VALU_DEP_2) | instskip(NEXT) | instid1(VALU_DEP_2)
	v_add_f64_e32 v[2:3], 0xc0a03f69ebf84c5c, v[2:3]
	v_div_scale_f64 v[6:7], null, v[0:1], v[0:1], s[14:15]
	s_delay_alu instid0(VALU_DEP_1) | instskip(SKIP_1) | instid1(TRANS32_DEP_1)
	v_rcp_f64_e32 v[18:19], v[6:7]
	v_nop
	v_fma_f64 v[30:31], -v[6:7], v[18:19], 1.0
	s_delay_alu instid0(VALU_DEP_1) | instskip(NEXT) | instid1(VALU_DEP_1)
	v_fmac_f64_e32 v[18:19], v[18:19], v[30:31]
	v_fma_f64 v[30:31], -v[6:7], v[18:19], 1.0
	s_delay_alu instid0(VALU_DEP_1) | instskip(SKIP_1) | instid1(VALU_DEP_1)
	v_fmac_f64_e32 v[18:19], v[18:19], v[30:31]
	v_div_scale_f64 v[30:31], vcc_lo, s[14:15], v[0:1], s[14:15]
	v_mul_f64_e32 v[52:53], v[30:31], v[18:19]
	s_delay_alu instid0(VALU_DEP_1) | instskip(NEXT) | instid1(VALU_DEP_1)
	v_fma_f64 v[6:7], -v[6:7], v[52:53], v[30:31]
	v_div_fmas_f64 v[6:7], v[6:7], v[18:19], v[52:53]
	s_delay_alu instid0(VALU_DEP_1) | instskip(SKIP_1) | instid1(VALU_DEP_1)
	v_div_fixup_f64 v[0:1], v[6:7], v[0:1], s[14:15]
	s_mov_b64 s[14:15], 0xbf3136266c5315c4
	v_fmac_f64_e32 v[0:1], v[2:3], v[48:49]
	v_fmaak_f64 v[2:3], s[14:15], v[14:15], 0x3fa1e0e03ff9717c
	s_mov_b64 s[14:15], 0xc14640a99182ff23
	s_delay_alu instid0(SALU_CYCLE_1) | instskip(NEXT) | instid1(VALU_DEP_2)
	v_div_scale_f64 v[6:7], null, v[14:15], v[14:15], s[14:15]
	v_fmaak_f64 v[2:3], v[14:15], v[2:3], 0xc008bf3c03b61349
	s_delay_alu instid0(VALU_DEP_1) | instskip(NEXT) | instid1(VALU_DEP_1)
	v_fmaak_f64 v[2:3], v[14:15], v[2:3], 0x405ac26084b0a871
	v_fmaak_f64 v[2:3], v[14:15], v[2:3], 0xc0a27d3157bb853e
	s_delay_alu instid0(VALU_DEP_4) | instskip(SKIP_1) | instid1(TRANS32_DEP_1)
	v_rcp_f64_e32 v[18:19], v[6:7]
	v_nop
	v_fma_f64 v[30:31], -v[6:7], v[18:19], 1.0
	s_delay_alu instid0(VALU_DEP_1) | instskip(NEXT) | instid1(VALU_DEP_1)
	v_fmac_f64_e32 v[18:19], v[18:19], v[30:31]
	v_fma_f64 v[30:31], -v[6:7], v[18:19], 1.0
	s_delay_alu instid0(VALU_DEP_1) | instskip(SKIP_1) | instid1(VALU_DEP_1)
	v_fmac_f64_e32 v[18:19], v[18:19], v[30:31]
	v_div_scale_f64 v[30:31], vcc_lo, s[14:15], v[14:15], s[14:15]
	v_mul_f64_e32 v[52:53], v[30:31], v[18:19]
	s_delay_alu instid0(VALU_DEP_1) | instskip(NEXT) | instid1(VALU_DEP_1)
	v_fma_f64 v[6:7], -v[6:7], v[52:53], v[30:31]
	v_div_fmas_f64 v[6:7], v[6:7], v[18:19], v[52:53]
	s_delay_alu instid0(VALU_DEP_1) | instskip(SKIP_1) | instid1(VALU_DEP_1)
	v_div_fixup_f64 v[6:7], v[6:7], v[14:15], s[14:15]
	s_mov_b64 s[14:15], 0x3ffc8d4844af141d
	v_add_f64_e32 v[6:7], 0x413588df0d790047, v[6:7]
	s_delay_alu instid0(VALU_DEP_1) | instskip(NEXT) | instid1(VALU_DEP_1)
	v_div_scale_f64 v[18:19], null, v[14:15], v[14:15], v[6:7]
	v_rcp_f64_e32 v[30:31], v[18:19]
	v_nop
	s_delay_alu instid0(TRANS32_DEP_1) | instskip(NEXT) | instid1(VALU_DEP_1)
	v_fma_f64 v[52:53], -v[18:19], v[30:31], 1.0
	v_fmac_f64_e32 v[30:31], v[30:31], v[52:53]
	s_delay_alu instid0(VALU_DEP_1) | instskip(NEXT) | instid1(VALU_DEP_1)
	v_fma_f64 v[52:53], -v[18:19], v[30:31], 1.0
	v_fmac_f64_e32 v[30:31], v[30:31], v[52:53]
	v_div_scale_f64 v[52:53], vcc_lo, v[6:7], v[14:15], v[6:7]
	s_delay_alu instid0(VALU_DEP_1) | instskip(NEXT) | instid1(VALU_DEP_1)
	v_mul_f64_e32 v[54:55], v[52:53], v[30:31]
	v_fma_f64 v[18:19], -v[18:19], v[54:55], v[52:53]
	s_delay_alu instid0(VALU_DEP_1) | instskip(NEXT) | instid1(VALU_DEP_1)
	v_div_fmas_f64 v[18:19], v[18:19], v[30:31], v[54:55]
	v_div_fixup_f64 v[6:7], v[18:19], v[14:15], v[6:7]
	s_delay_alu instid0(VALU_DEP_1) | instskip(NEXT) | instid1(VALU_DEP_1)
	v_add_f64_e32 v[6:7], 0xc111cb31577bf3db, v[6:7]
	v_div_scale_f64 v[18:19], null, v[14:15], v[14:15], v[6:7]
	s_delay_alu instid0(VALU_DEP_1) | instskip(SKIP_1) | instid1(TRANS32_DEP_1)
	v_rcp_f64_e32 v[30:31], v[18:19]
	v_nop
	v_fma_f64 v[52:53], -v[18:19], v[30:31], 1.0
	s_delay_alu instid0(VALU_DEP_1) | instskip(NEXT) | instid1(VALU_DEP_1)
	v_fmac_f64_e32 v[30:31], v[30:31], v[52:53]
	v_fma_f64 v[52:53], -v[18:19], v[30:31], 1.0
	s_delay_alu instid0(VALU_DEP_1) | instskip(SKIP_1) | instid1(VALU_DEP_1)
	v_fmac_f64_e32 v[30:31], v[30:31], v[52:53]
	v_div_scale_f64 v[52:53], vcc_lo, v[6:7], v[14:15], v[6:7]
	v_mul_f64_e32 v[54:55], v[52:53], v[30:31]
	s_delay_alu instid0(VALU_DEP_1) | instskip(NEXT) | instid1(VALU_DEP_1)
	v_fma_f64 v[18:19], -v[18:19], v[54:55], v[52:53]
	v_div_fmas_f64 v[18:19], v[18:19], v[30:31], v[54:55]
	s_delay_alu instid0(VALU_DEP_1) | instskip(NEXT) | instid1(VALU_DEP_1)
	v_div_fixup_f64 v[6:7], v[18:19], v[14:15], v[6:7]
	v_fmac_f64_e32 v[6:7], v[14:15], v[2:3]
	v_add_f64_e32 v[2:3], 0xbffc8d4844af141d, v[14:15]
	s_delay_alu instid0(VALU_DEP_2) | instskip(NEXT) | instid1(VALU_DEP_2)
	v_add_f64_e32 v[6:7], 0x40e05e09316d409b, v[6:7]
	v_div_scale_f64 v[18:19], null, v[2:3], v[2:3], s[14:15]
	s_delay_alu instid0(VALU_DEP_1) | instskip(SKIP_1) | instid1(TRANS32_DEP_1)
	v_rcp_f64_e32 v[30:31], v[18:19]
	v_nop
	v_fma_f64 v[52:53], -v[18:19], v[30:31], 1.0
	s_delay_alu instid0(VALU_DEP_1) | instskip(NEXT) | instid1(VALU_DEP_1)
	v_fmac_f64_e32 v[30:31], v[30:31], v[52:53]
	v_fma_f64 v[52:53], -v[18:19], v[30:31], 1.0
	s_delay_alu instid0(VALU_DEP_1) | instskip(SKIP_1) | instid1(VALU_DEP_1)
	v_fmac_f64_e32 v[30:31], v[30:31], v[52:53]
	v_div_scale_f64 v[52:53], vcc_lo, s[14:15], v[2:3], s[14:15]
	v_mul_f64_e32 v[54:55], v[52:53], v[30:31]
	s_delay_alu instid0(VALU_DEP_1) | instskip(NEXT) | instid1(VALU_DEP_1)
	v_fma_f64 v[18:19], -v[18:19], v[54:55], v[52:53]
	v_div_fmas_f64 v[18:19], v[18:19], v[30:31], v[54:55]
	s_delay_alu instid0(VALU_DEP_1) | instskip(SKIP_1) | instid1(VALU_DEP_1)
	v_div_fixup_f64 v[2:3], v[18:19], v[2:3], s[14:15]
	s_mov_b64 s[14:15], 0x3f186d951cf896df
	v_fmac_f64_e32 v[2:3], v[6:7], v[48:49]
	v_fmaak_f64 v[6:7], s[14:15], v[14:15], 0xbf9d644db3b37cd8
	s_mov_b64 s[14:15], 0xc1072c2c1313d2ce
	s_delay_alu instid0(SALU_CYCLE_1) | instskip(NEXT) | instid1(VALU_DEP_2)
	v_div_scale_f64 v[18:19], null, v[14:15], v[14:15], s[14:15]
	v_fmaak_f64 v[6:7], v[14:15], v[6:7], 0xbfe9127658db5abf
	s_delay_alu instid0(VALU_DEP_1) | instskip(NEXT) | instid1(VALU_DEP_1)
	v_fmaak_f64 v[6:7], v[14:15], v[6:7], 0xc0326f136458880d
	v_fmaak_f64 v[6:7], v[14:15], v[6:7], 0x40794ff288f6d09a
	s_delay_alu instid0(VALU_DEP_4) | instskip(SKIP_1) | instid1(TRANS32_DEP_1)
	v_rcp_f64_e32 v[30:31], v[18:19]
	v_nop
	v_fma_f64 v[52:53], -v[18:19], v[30:31], 1.0
	s_delay_alu instid0(VALU_DEP_1) | instskip(NEXT) | instid1(VALU_DEP_1)
	v_fmac_f64_e32 v[30:31], v[30:31], v[52:53]
	v_fma_f64 v[52:53], -v[18:19], v[30:31], 1.0
	s_delay_alu instid0(VALU_DEP_1) | instskip(SKIP_1) | instid1(VALU_DEP_1)
	v_fmac_f64_e32 v[30:31], v[30:31], v[52:53]
	v_div_scale_f64 v[52:53], vcc_lo, s[14:15], v[14:15], s[14:15]
	v_mul_f64_e32 v[54:55], v[52:53], v[30:31]
	s_delay_alu instid0(VALU_DEP_1) | instskip(NEXT) | instid1(VALU_DEP_1)
	v_fma_f64 v[18:19], -v[18:19], v[54:55], v[52:53]
	v_div_fmas_f64 v[18:19], v[18:19], v[30:31], v[54:55]
	s_delay_alu instid0(VALU_DEP_1) | instskip(NEXT) | instid1(VALU_DEP_1)
	v_div_fixup_f64 v[18:19], v[18:19], v[14:15], s[14:15]
	v_add_f64_e32 v[18:19], 0x40e8f9bad9c89bfe, v[18:19]
	s_delay_alu instid0(VALU_DEP_1) | instskip(NEXT) | instid1(VALU_DEP_1)
	v_div_scale_f64 v[30:31], null, v[14:15], v[14:15], v[18:19]
	v_rcp_f64_e32 v[52:53], v[30:31]
	v_nop
	s_delay_alu instid0(TRANS32_DEP_1) | instskip(NEXT) | instid1(VALU_DEP_1)
	v_fma_f64 v[54:55], -v[30:31], v[52:53], 1.0
	v_fmac_f64_e32 v[52:53], v[52:53], v[54:55]
	s_delay_alu instid0(VALU_DEP_1) | instskip(NEXT) | instid1(VALU_DEP_1)
	v_fma_f64 v[54:55], -v[30:31], v[52:53], 1.0
	v_fmac_f64_e32 v[52:53], v[52:53], v[54:55]
	v_div_scale_f64 v[54:55], vcc_lo, v[18:19], v[14:15], v[18:19]
	s_delay_alu instid0(VALU_DEP_1) | instskip(NEXT) | instid1(VALU_DEP_1)
	v_mul_f64_e32 v[98:99], v[54:55], v[52:53]
	v_fma_f64 v[30:31], -v[30:31], v[98:99], v[54:55]
	s_delay_alu instid0(VALU_DEP_1) | instskip(NEXT) | instid1(VALU_DEP_1)
	v_div_fmas_f64 v[30:31], v[30:31], v[52:53], v[98:99]
	v_div_fixup_f64 v[18:19], v[30:31], v[14:15], v[18:19]
	s_delay_alu instid0(VALU_DEP_1) | instskip(NEXT) | instid1(VALU_DEP_1)
	v_fmac_f64_e32 v[18:19], v[14:15], v[6:7]
	v_add_f64_e32 v[30:31], 0xc0bae1754dc4ad02, v[18:19]
.LBB0_119:
	s_or_b32 exec_lo, exec_lo, s0
	v_fma_f64 v[6:7], 2.0, v[34:35], v[34:35]
	s_mov_b64 s[0:1], 0x401619f3b5c0b740
	s_delay_alu instid0(VALU_DEP_1) | instskip(NEXT) | instid1(VALU_DEP_1)
	v_add_f64_e64 v[6:7], v[6:7], -v[48:49]
	v_div_scale_f64 v[18:19], null, v[50:51], v[50:51], v[6:7]
	s_delay_alu instid0(VALU_DEP_1) | instskip(SKIP_1) | instid1(TRANS32_DEP_1)
	v_rcp_f64_e32 v[52:53], v[18:19]
	v_nop
	v_fma_f64 v[54:55], -v[18:19], v[52:53], 1.0
	s_delay_alu instid0(VALU_DEP_1) | instskip(NEXT) | instid1(VALU_DEP_1)
	v_fmac_f64_e32 v[52:53], v[52:53], v[54:55]
	v_fma_f64 v[54:55], -v[18:19], v[52:53], 1.0
	s_delay_alu instid0(VALU_DEP_1) | instskip(SKIP_1) | instid1(VALU_DEP_1)
	v_fmac_f64_e32 v[52:53], v[52:53], v[54:55]
	v_div_scale_f64 v[54:55], vcc_lo, v[6:7], v[50:51], v[6:7]
	v_mul_f64_e32 v[98:99], v[54:55], v[52:53]
	s_delay_alu instid0(VALU_DEP_1) | instskip(NEXT) | instid1(VALU_DEP_1)
	v_fma_f64 v[18:19], -v[18:19], v[98:99], v[54:55]
	v_div_fmas_f64 v[18:19], v[18:19], v[52:53], v[98:99]
	s_delay_alu instid0(VALU_DEP_1) | instskip(SKIP_1) | instid1(VALU_DEP_1)
	v_div_fixup_f64 v[18:19], v[18:19], v[50:51], v[6:7]
	v_add_f64_e32 v[6:7], 0xc01619f3b5c0b740, v[14:15]
	v_div_scale_f64 v[14:15], null, v[6:7], v[6:7], s[0:1]
	s_delay_alu instid0(VALU_DEP_1) | instskip(SKIP_1) | instid1(TRANS32_DEP_1)
	v_rcp_f64_e32 v[50:51], v[14:15]
	v_nop
	v_fma_f64 v[52:53], -v[14:15], v[50:51], 1.0
	s_delay_alu instid0(VALU_DEP_1) | instskip(NEXT) | instid1(VALU_DEP_1)
	v_fmac_f64_e32 v[50:51], v[50:51], v[52:53]
	v_fma_f64 v[52:53], -v[14:15], v[50:51], 1.0
	s_delay_alu instid0(VALU_DEP_1) | instskip(SKIP_1) | instid1(VALU_DEP_1)
	v_fmac_f64_e32 v[50:51], v[50:51], v[52:53]
	v_div_scale_f64 v[52:53], vcc_lo, s[0:1], v[6:7], s[0:1]
	v_mul_f64_e32 v[54:55], v[52:53], v[50:51]
	s_delay_alu instid0(VALU_DEP_1) | instskip(NEXT) | instid1(VALU_DEP_1)
	v_fma_f64 v[14:15], -v[14:15], v[54:55], v[52:53]
	v_div_fmas_f64 v[14:15], v[14:15], v[50:51], v[54:55]
	s_delay_alu instid0(VALU_DEP_1) | instskip(SKIP_1) | instid1(VALU_DEP_2)
	v_div_fixup_f64 v[6:7], v[14:15], v[6:7], s[0:1]
	v_add_f64_e32 v[14:15], 1.0, v[0:1]
	v_fmac_f64_e32 v[6:7], v[48:49], v[30:31]
	s_delay_alu instid0(VALU_DEP_2) | instskip(NEXT) | instid1(VALU_DEP_1)
	v_div_scale_f64 v[30:31], null, v[14:15], v[14:15], v[0:1]
	v_rcp_f64_e32 v[48:49], v[30:31]
	v_nop
	s_delay_alu instid0(TRANS32_DEP_1) | instskip(NEXT) | instid1(VALU_DEP_1)
	v_fma_f64 v[50:51], -v[30:31], v[48:49], 1.0
	v_fmac_f64_e32 v[48:49], v[48:49], v[50:51]
	s_delay_alu instid0(VALU_DEP_1) | instskip(NEXT) | instid1(VALU_DEP_1)
	v_fma_f64 v[50:51], -v[30:31], v[48:49], 1.0
	v_fmac_f64_e32 v[48:49], v[48:49], v[50:51]
	v_div_scale_f64 v[50:51], vcc_lo, v[0:1], v[14:15], v[0:1]
	s_delay_alu instid0(VALU_DEP_1) | instskip(NEXT) | instid1(VALU_DEP_1)
	v_mul_f64_e32 v[52:53], v[50:51], v[48:49]
	v_fma_f64 v[30:31], -v[30:31], v[52:53], v[50:51]
	s_delay_alu instid0(VALU_DEP_1) | instskip(NEXT) | instid1(VALU_DEP_1)
	v_div_fmas_f64 v[30:31], v[30:31], v[48:49], v[52:53]
	v_div_fixup_f64 v[14:15], v[30:31], v[14:15], v[0:1]
	v_add_f64_e32 v[30:31], 1.0, v[2:3]
	s_delay_alu instid0(VALU_DEP_1) | instskip(NEXT) | instid1(VALU_DEP_1)
	v_div_scale_f64 v[48:49], null, v[30:31], v[30:31], v[2:3]
	v_rcp_f64_e32 v[50:51], v[48:49]
	v_nop
	s_delay_alu instid0(TRANS32_DEP_1) | instskip(NEXT) | instid1(VALU_DEP_1)
	v_fma_f64 v[52:53], -v[48:49], v[50:51], 1.0
	v_fmac_f64_e32 v[50:51], v[50:51], v[52:53]
	s_delay_alu instid0(VALU_DEP_1) | instskip(NEXT) | instid1(VALU_DEP_1)
	v_fma_f64 v[52:53], -v[48:49], v[50:51], 1.0
	v_fmac_f64_e32 v[50:51], v[50:51], v[52:53]
	v_div_scale_f64 v[52:53], vcc_lo, v[2:3], v[30:31], v[2:3]
	s_delay_alu instid0(VALU_DEP_1) | instskip(NEXT) | instid1(VALU_DEP_1)
	v_mul_f64_e32 v[54:55], v[52:53], v[50:51]
	v_fma_f64 v[48:49], -v[48:49], v[54:55], v[52:53]
	s_delay_alu instid0(VALU_DEP_1) | instskip(NEXT) | instid1(VALU_DEP_1)
	v_div_fmas_f64 v[48:49], v[48:49], v[50:51], v[54:55]
	v_div_fixup_f64 v[30:31], v[48:49], v[30:31], v[2:3]
	v_add_f64_e32 v[48:49], 1.0, v[6:7]
	s_delay_alu instid0(VALU_DEP_1) | instskip(NEXT) | instid1(VALU_DEP_1)
	v_div_scale_f64 v[50:51], null, v[48:49], v[48:49], v[6:7]
	v_rcp_f64_e32 v[52:53], v[50:51]
	v_nop
	s_delay_alu instid0(TRANS32_DEP_1) | instskip(NEXT) | instid1(VALU_DEP_1)
	v_fma_f64 v[54:55], -v[50:51], v[52:53], 1.0
	v_fmac_f64_e32 v[52:53], v[52:53], v[54:55]
	s_delay_alu instid0(VALU_DEP_1) | instskip(NEXT) | instid1(VALU_DEP_1)
	v_fma_f64 v[54:55], -v[50:51], v[52:53], 1.0
	v_fmac_f64_e32 v[52:53], v[52:53], v[54:55]
	v_div_scale_f64 v[54:55], vcc_lo, v[6:7], v[48:49], v[6:7]
	s_delay_alu instid0(VALU_DEP_1) | instskip(NEXT) | instid1(VALU_DEP_1)
	v_mul_f64_e32 v[98:99], v[54:55], v[52:53]
	v_fma_f64 v[50:51], -v[50:51], v[98:99], v[54:55]
	s_delay_alu instid0(VALU_DEP_1) | instskip(NEXT) | instid1(VALU_DEP_1)
	v_div_fmas_f64 v[50:51], v[50:51], v[52:53], v[98:99]
	v_div_fixup_f64 v[48:49], v[50:51], v[48:49], v[6:7]
	v_fma_f64 v[50:51], -v[34:35], v[14:15], v[18:19]
	v_fma_f64 v[34:35], -v[4:5], v[14:15], v[34:35]
	s_delay_alu instid0(VALU_DEP_3) | instskip(SKIP_1) | instid1(VALU_DEP_3)
	v_add_f64_e64 v[52:53], v[48:49], -v[30:31]
	v_add_f64_e64 v[54:55], v[48:49], -v[14:15]
	v_fma_f64 v[18:19], -v[30:31], v[34:35], v[50:51]
	v_add_f64_e64 v[14:15], v[30:31], -v[14:15]
	v_fma_f64 v[34:35], v[48:49], v[34:35], -v[50:51]
	s_delay_alu instid0(VALU_DEP_4) | instskip(NEXT) | instid1(VALU_DEP_3)
	v_mul_f64_e32 v[54:55], v[52:53], v[54:55]
	v_mul_f64_e32 v[14:15], v[14:15], v[52:53]
	s_delay_alu instid0(VALU_DEP_2) | instskip(NEXT) | instid1(VALU_DEP_2)
	v_div_scale_f64 v[98:99], null, v[54:55], v[54:55], v[18:19]
	v_div_scale_f64 v[30:31], null, v[14:15], v[14:15], v[34:35]
	s_delay_alu instid0(VALU_DEP_2) | instskip(NEXT) | instid1(VALU_DEP_1)
	v_rcp_f64_e32 v[100:101], v[98:99]
	v_rcp_f64_e32 v[48:49], v[30:31]
	s_delay_alu instid0(TRANS32_DEP_2) | instskip(NEXT) | instid1(TRANS32_DEP_1)
	v_fma_f64 v[102:103], -v[98:99], v[100:101], 1.0
	v_fma_f64 v[50:51], -v[30:31], v[48:49], 1.0
	s_delay_alu instid0(VALU_DEP_2) | instskip(NEXT) | instid1(VALU_DEP_2)
	v_fmac_f64_e32 v[100:101], v[100:101], v[102:103]
	v_fmac_f64_e32 v[48:49], v[48:49], v[50:51]
	s_delay_alu instid0(VALU_DEP_2) | instskip(NEXT) | instid1(VALU_DEP_2)
	v_fma_f64 v[102:103], -v[98:99], v[100:101], 1.0
	v_fma_f64 v[50:51], -v[30:31], v[48:49], 1.0
	s_delay_alu instid0(VALU_DEP_2) | instskip(SKIP_1) | instid1(VALU_DEP_3)
	v_fmac_f64_e32 v[100:101], v[100:101], v[102:103]
	v_div_scale_f64 v[102:103], vcc_lo, v[18:19], v[54:55], v[18:19]
	v_fmac_f64_e32 v[48:49], v[48:49], v[50:51]
	s_delay_alu instid0(VALU_DEP_2) | instskip(NEXT) | instid1(VALU_DEP_1)
	v_mul_f64_e32 v[112:113], v[102:103], v[100:101]
	v_fma_f64 v[98:99], -v[98:99], v[112:113], v[102:103]
	s_delay_alu instid0(VALU_DEP_1) | instskip(SKIP_1) | instid1(VALU_DEP_2)
	v_div_fmas_f64 v[98:99], v[98:99], v[100:101], v[112:113]
	v_div_scale_f64 v[50:51], vcc_lo, v[34:35], v[14:15], v[34:35]
	v_div_fixup_f64 v[18:19], v[98:99], v[54:55], v[18:19]
	s_delay_alu instid0(VALU_DEP_2) | instskip(NEXT) | instid1(VALU_DEP_1)
	v_mul_f64_e32 v[52:53], v[50:51], v[48:49]
	v_fma_f64 v[30:31], -v[30:31], v[52:53], v[50:51]
	s_delay_alu instid0(VALU_DEP_1) | instskip(NEXT) | instid1(VALU_DEP_1)
	v_div_fmas_f64 v[30:31], v[30:31], v[48:49], v[52:53]
	v_div_fixup_f64 v[30:31], v[30:31], v[14:15], v[34:35]
	s_delay_alu instid0(VALU_DEP_1) | instskip(NEXT) | instid1(VALU_DEP_1)
	v_add_f64_e64 v[4:5], v[4:5], -v[30:31]
	v_add_f64_e64 v[4:5], v[4:5], -v[18:19]
.LBB0_120:
	s_or_b32 exec_lo, exec_lo, s12
                                        ; implicit-def: $vgpr14_vgpr15
                                        ; implicit-def: $vgpr48_vgpr49
                                        ; implicit-def: $vgpr34_vgpr35
.LBB0_121:
	s_and_not1_saveexec_b32 s0, s11
	s_cbranch_execz .LBB0_123
; %bb.122:
	s_mov_b64 s[12:13], 0xbeb347312e1a6850
	s_delay_alu instid0(SALU_CYCLE_1) | instskip(SKIP_1) | instid1(SALU_CYCLE_1)
	v_fmaak_f64 v[0:1], s[12:13], v[14:15], 0x3f2711b1c7014c2f
	s_mov_b64 s[12:13], 0xc047c97f98a19a3b
	v_div_scale_f64 v[2:3], null, v[14:15], v[14:15], s[12:13]
	s_delay_alu instid0(VALU_DEP_2) | instskip(NEXT) | instid1(VALU_DEP_1)
	v_fmaak_f64 v[0:1], v[14:15], v[0:1], 0xbf919c753ecbb5b5
	v_fmaak_f64 v[0:1], v[14:15], v[0:1], 0xbfc192ce2c4d6e04
	s_delay_alu instid0(VALU_DEP_3) | instskip(SKIP_1) | instid1(TRANS32_DEP_1)
	v_rcp_f64_e32 v[6:7], v[2:3]
	v_nop
	v_fma_f64 v[18:19], -v[2:3], v[6:7], 1.0
	s_delay_alu instid0(VALU_DEP_1) | instskip(NEXT) | instid1(VALU_DEP_1)
	v_fmac_f64_e32 v[6:7], v[6:7], v[18:19]
	v_fma_f64 v[18:19], -v[2:3], v[6:7], 1.0
	s_delay_alu instid0(VALU_DEP_1) | instskip(SKIP_1) | instid1(VALU_DEP_1)
	v_fmac_f64_e32 v[6:7], v[6:7], v[18:19]
	v_div_scale_f64 v[18:19], vcc_lo, s[12:13], v[14:15], s[12:13]
	v_mul_f64_e32 v[30:31], v[18:19], v[6:7]
	s_delay_alu instid0(VALU_DEP_1) | instskip(NEXT) | instid1(VALU_DEP_1)
	v_fma_f64 v[2:3], -v[2:3], v[30:31], v[18:19]
	v_div_fmas_f64 v[2:3], v[2:3], v[6:7], v[30:31]
	s_delay_alu instid0(VALU_DEP_1) | instskip(SKIP_1) | instid1(VALU_DEP_1)
	v_div_fixup_f64 v[2:3], v[2:3], v[14:15], s[12:13]
	s_mov_b64 s[12:13], 0x3fd19dc7afdb7b47
	v_add_f64_e32 v[2:3], 0x40226b8beb08f581, v[2:3]
	s_delay_alu instid0(VALU_DEP_1) | instskip(NEXT) | instid1(VALU_DEP_1)
	v_div_scale_f64 v[6:7], null, v[14:15], v[14:15], v[2:3]
	v_rcp_f64_e32 v[18:19], v[6:7]
	v_nop
	s_delay_alu instid0(TRANS32_DEP_1) | instskip(NEXT) | instid1(VALU_DEP_1)
	v_fma_f64 v[30:31], -v[6:7], v[18:19], 1.0
	v_fmac_f64_e32 v[18:19], v[18:19], v[30:31]
	s_delay_alu instid0(VALU_DEP_1) | instskip(NEXT) | instid1(VALU_DEP_1)
	v_fma_f64 v[30:31], -v[6:7], v[18:19], 1.0
	v_fmac_f64_e32 v[18:19], v[18:19], v[30:31]
	v_div_scale_f64 v[30:31], vcc_lo, v[2:3], v[14:15], v[2:3]
	s_delay_alu instid0(VALU_DEP_1) | instskip(NEXT) | instid1(VALU_DEP_1)
	v_mul_f64_e32 v[50:51], v[30:31], v[18:19]
	v_fma_f64 v[6:7], -v[6:7], v[50:51], v[30:31]
	s_delay_alu instid0(VALU_DEP_1) | instskip(NEXT) | instid1(VALU_DEP_1)
	v_div_fmas_f64 v[6:7], v[6:7], v[18:19], v[50:51]
	v_div_fixup_f64 v[2:3], v[6:7], v[14:15], v[2:3]
	s_delay_alu instid0(VALU_DEP_1) | instskip(SKIP_1) | instid1(VALU_DEP_2)
	v_fmac_f64_e32 v[2:3], v[14:15], v[0:1]
	v_add_f64_e32 v[0:1], 0xbfd19dc7afdb7b47, v[14:15]
	v_add_f64_e32 v[2:3], 0xbf97a9a57e7368c2, v[2:3]
	s_delay_alu instid0(VALU_DEP_2) | instskip(NEXT) | instid1(VALU_DEP_1)
	v_div_scale_f64 v[6:7], null, v[0:1], v[0:1], s[12:13]
	v_rcp_f64_e32 v[18:19], v[6:7]
	v_nop
	s_delay_alu instid0(TRANS32_DEP_1) | instskip(NEXT) | instid1(VALU_DEP_1)
	v_fma_f64 v[30:31], -v[6:7], v[18:19], 1.0
	v_fmac_f64_e32 v[18:19], v[18:19], v[30:31]
	s_delay_alu instid0(VALU_DEP_1) | instskip(NEXT) | instid1(VALU_DEP_1)
	v_fma_f64 v[30:31], -v[6:7], v[18:19], 1.0
	v_fmac_f64_e32 v[18:19], v[18:19], v[30:31]
	v_div_scale_f64 v[30:31], vcc_lo, s[12:13], v[0:1], s[12:13]
	s_delay_alu instid0(VALU_DEP_1) | instskip(NEXT) | instid1(VALU_DEP_1)
	v_mul_f64_e32 v[50:51], v[30:31], v[18:19]
	v_fma_f64 v[6:7], -v[6:7], v[50:51], v[30:31]
	s_delay_alu instid0(VALU_DEP_1) | instskip(NEXT) | instid1(VALU_DEP_1)
	v_div_fmas_f64 v[6:7], v[6:7], v[18:19], v[50:51]
	v_div_fixup_f64 v[0:1], v[6:7], v[0:1], s[12:13]
	s_mov_b64 s[12:13], 0x3f37ea5e7b27a661
	s_delay_alu instid0(VALU_DEP_1) | instskip(SKIP_2) | instid1(SALU_CYCLE_1)
	v_fmac_f64_e32 v[0:1], v[2:3], v[48:49]
	v_fmaak_f64 v[2:3], s[12:13], v[14:15], 0xbfb8e11f5eeb529d
	s_mov_b64 s[12:13], 0xc060fa9791cc54ee
	v_div_scale_f64 v[6:7], null, v[14:15], v[14:15], s[12:13]
	s_delay_alu instid0(VALU_DEP_2) | instskip(NEXT) | instid1(VALU_DEP_2)
	v_fmaak_f64 v[2:3], v[14:15], v[2:3], 0xc0101d8def27b1df
	v_rcp_f64_e32 v[18:19], v[6:7]
	v_nop
	s_delay_alu instid0(TRANS32_DEP_1) | instskip(NEXT) | instid1(VALU_DEP_1)
	v_fma_f64 v[30:31], -v[6:7], v[18:19], 1.0
	v_fmac_f64_e32 v[18:19], v[18:19], v[30:31]
	s_delay_alu instid0(VALU_DEP_1) | instskip(NEXT) | instid1(VALU_DEP_1)
	v_fma_f64 v[30:31], -v[6:7], v[18:19], 1.0
	v_fmac_f64_e32 v[18:19], v[18:19], v[30:31]
	v_div_scale_f64 v[30:31], vcc_lo, s[12:13], v[14:15], s[12:13]
	s_delay_alu instid0(VALU_DEP_1) | instskip(NEXT) | instid1(VALU_DEP_1)
	v_mul_f64_e32 v[50:51], v[30:31], v[18:19]
	v_fma_f64 v[6:7], -v[6:7], v[50:51], v[30:31]
	s_delay_alu instid0(VALU_DEP_1) | instskip(NEXT) | instid1(VALU_DEP_1)
	v_div_fmas_f64 v[6:7], v[6:7], v[18:19], v[50:51]
	v_div_fixup_f64 v[6:7], v[6:7], v[14:15], s[12:13]
	s_mov_b64 s[12:13], 0x4005cc470a049083
	s_delay_alu instid0(VALU_DEP_1) | instskip(NEXT) | instid1(VALU_DEP_1)
	v_add_f64_e32 v[6:7], 0xc055ac1b66acbf03, v[6:7]
	v_div_scale_f64 v[18:19], null, v[14:15], v[14:15], v[6:7]
	s_delay_alu instid0(VALU_DEP_1) | instskip(SKIP_1) | instid1(TRANS32_DEP_1)
	v_rcp_f64_e32 v[30:31], v[18:19]
	v_nop
	v_fma_f64 v[50:51], -v[18:19], v[30:31], 1.0
	s_delay_alu instid0(VALU_DEP_1) | instskip(NEXT) | instid1(VALU_DEP_1)
	v_fmac_f64_e32 v[30:31], v[30:31], v[50:51]
	v_fma_f64 v[50:51], -v[18:19], v[30:31], 1.0
	s_delay_alu instid0(VALU_DEP_1) | instskip(SKIP_1) | instid1(VALU_DEP_1)
	v_fmac_f64_e32 v[30:31], v[30:31], v[50:51]
	v_div_scale_f64 v[50:51], vcc_lo, v[6:7], v[14:15], v[6:7]
	v_mul_f64_e32 v[52:53], v[50:51], v[30:31]
	s_delay_alu instid0(VALU_DEP_1) | instskip(NEXT) | instid1(VALU_DEP_1)
	v_fma_f64 v[18:19], -v[18:19], v[52:53], v[50:51]
	v_div_fmas_f64 v[18:19], v[18:19], v[30:31], v[52:53]
	s_delay_alu instid0(VALU_DEP_1) | instskip(NEXT) | instid1(VALU_DEP_1)
	v_div_fixup_f64 v[6:7], v[18:19], v[14:15], v[6:7]
	v_fmac_f64_e32 v[6:7], v[14:15], v[2:3]
	v_add_f64_e32 v[2:3], 0xc005cc470a049083, v[14:15]
	s_delay_alu instid0(VALU_DEP_2) | instskip(NEXT) | instid1(VALU_DEP_2)
	v_add_f64_e32 v[6:7], 0x4007d7455e33dc4b, v[6:7]
	v_div_scale_f64 v[14:15], null, v[2:3], v[2:3], s[12:13]
	s_delay_alu instid0(VALU_DEP_1) | instskip(SKIP_1) | instid1(TRANS32_DEP_1)
	v_rcp_f64_e32 v[18:19], v[14:15]
	v_nop
	v_fma_f64 v[30:31], -v[14:15], v[18:19], 1.0
	s_delay_alu instid0(VALU_DEP_1) | instskip(NEXT) | instid1(VALU_DEP_1)
	v_fmac_f64_e32 v[18:19], v[18:19], v[30:31]
	v_fma_f64 v[30:31], -v[14:15], v[18:19], 1.0
	s_delay_alu instid0(VALU_DEP_1) | instskip(SKIP_1) | instid1(VALU_DEP_1)
	v_fmac_f64_e32 v[18:19], v[18:19], v[30:31]
	v_div_scale_f64 v[30:31], vcc_lo, s[12:13], v[2:3], s[12:13]
	v_mul_f64_e32 v[50:51], v[30:31], v[18:19]
	s_delay_alu instid0(VALU_DEP_1) | instskip(NEXT) | instid1(VALU_DEP_1)
	v_fma_f64 v[14:15], -v[14:15], v[50:51], v[30:31]
	v_div_fmas_f64 v[14:15], v[14:15], v[18:19], v[50:51]
	s_delay_alu instid0(VALU_DEP_1) | instskip(NEXT) | instid1(VALU_DEP_1)
	v_div_fixup_f64 v[2:3], v[14:15], v[2:3], s[12:13]
	v_fmac_f64_e32 v[2:3], v[6:7], v[48:49]
	v_add_f64_e64 v[6:7], v[34:35], -v[4:5]
	s_delay_alu instid0(VALU_DEP_2) | instskip(NEXT) | instid1(VALU_DEP_2)
	v_add_f64_e64 v[14:15], v[2:3], -v[0:1]
	v_fmac_f64_e32 v[34:35], v[0:1], v[6:7]
	v_add_f64_e32 v[6:7], 1.0, v[2:3]
	s_delay_alu instid0(VALU_DEP_1) | instskip(NEXT) | instid1(VALU_DEP_1)
	v_mul_f64_e32 v[6:7], v[6:7], v[34:35]
	v_div_scale_f64 v[18:19], null, v[14:15], v[14:15], v[6:7]
	s_delay_alu instid0(VALU_DEP_1) | instskip(SKIP_1) | instid1(TRANS32_DEP_1)
	v_rcp_f64_e32 v[30:31], v[18:19]
	v_nop
	v_fma_f64 v[34:35], -v[18:19], v[30:31], 1.0
	s_delay_alu instid0(VALU_DEP_1) | instskip(NEXT) | instid1(VALU_DEP_1)
	v_fmac_f64_e32 v[30:31], v[30:31], v[34:35]
	v_fma_f64 v[34:35], -v[18:19], v[30:31], 1.0
	s_delay_alu instid0(VALU_DEP_1) | instskip(SKIP_1) | instid1(VALU_DEP_1)
	v_fmac_f64_e32 v[30:31], v[30:31], v[34:35]
	v_div_scale_f64 v[34:35], vcc_lo, v[6:7], v[14:15], v[6:7]
	v_mul_f64_e32 v[48:49], v[34:35], v[30:31]
	s_delay_alu instid0(VALU_DEP_1) | instskip(NEXT) | instid1(VALU_DEP_1)
	v_fma_f64 v[18:19], -v[18:19], v[48:49], v[34:35]
	v_div_fmas_f64 v[18:19], v[18:19], v[30:31], v[48:49]
	s_delay_alu instid0(VALU_DEP_1) | instskip(SKIP_2) | instid1(VALU_DEP_3)
	v_div_fixup_f64 v[30:31], v[18:19], v[14:15], v[6:7]
	v_mov_b64_e32 v[18:19], 0
	v_mov_b64_e32 v[6:7], 0
	v_add_f64_e64 v[4:5], v[4:5], -v[30:31]
.LBB0_123:
	s_or_b32 exec_lo, exec_lo, s0
                                        ; implicit-def: $vgpr34_vgpr35
.LBB0_124:
	s_and_not1_saveexec_b32 s0, s10
	s_cbranch_execz .LBB0_128
; %bb.125:
	scratch_load_b32 v2, off, s33 offset:744 ; 4-byte Folded Reload
	v_mov_b64_e32 v[18:19], 0
	v_mov_b64_e32 v[0:1], 0
	s_mov_b32 s1, exec_lo
	s_wait_loadcnt 0x0
	v_cmpx_eq_u32_e32 0, v2
	s_cbranch_execz .LBB0_127
; %bb.126:
	v_add_f64_e64 v[0:1], v[4:5], -v[34:35]
	s_delay_alu instid0(VALU_DEP_1) | instskip(NEXT) | instid1(VALU_DEP_1)
	v_div_scale_f64 v[2:3], null, v[0:1], v[0:1], v[34:35]
	v_rcp_f64_e32 v[6:7], v[2:3]
	v_nop
	s_delay_alu instid0(TRANS32_DEP_1) | instskip(NEXT) | instid1(VALU_DEP_1)
	v_fma_f64 v[14:15], -v[2:3], v[6:7], 1.0
	v_fmac_f64_e32 v[6:7], v[6:7], v[14:15]
	s_delay_alu instid0(VALU_DEP_1) | instskip(NEXT) | instid1(VALU_DEP_1)
	v_fma_f64 v[14:15], -v[2:3], v[6:7], 1.0
	v_fmac_f64_e32 v[6:7], v[6:7], v[14:15]
	v_div_scale_f64 v[14:15], vcc_lo, v[34:35], v[0:1], v[34:35]
	s_delay_alu instid0(VALU_DEP_1) | instskip(NEXT) | instid1(VALU_DEP_1)
	v_mul_f64_e32 v[30:31], v[14:15], v[6:7]
	v_fma_f64 v[2:3], -v[2:3], v[30:31], v[14:15]
	s_delay_alu instid0(VALU_DEP_1) | instskip(NEXT) | instid1(VALU_DEP_1)
	v_div_fmas_f64 v[2:3], v[2:3], v[6:7], v[30:31]
	v_div_fixup_f64 v[0:1], v[2:3], v[0:1], v[34:35]
.LBB0_127:
	s_or_b32 exec_lo, exec_lo, s1
	v_mov_b64_e32 v[30:31], 0
	v_mov_b64_e32 v[6:7], 0
	;; [unrolled: 1-line block ×3, first 2 shown]
.LBB0_128:
	s_or_b32 exec_lo, exec_lo, s0
.LBB0_129:
	s_delay_alu instid0(SALU_CYCLE_1)
	s_or_b32 exec_lo, exec_lo, s9
                                        ; implicit-def: $vgpr14_vgpr15
.LBB0_130:
	s_and_not1_saveexec_b32 s1, s8
	s_cbranch_execz .LBB0_144
; %bb.131:
	s_mov_b64 s[8:9], 0xbfc80b5db621ca13
	s_delay_alu instid0(SALU_CYCLE_1) | instskip(SKIP_1) | instid1(VALU_DEP_2)
	v_div_scale_f64 v[0:1], null, v[14:15], v[14:15], s[8:9]
	v_div_scale_f64 v[6:7], vcc_lo, s[8:9], v[14:15], s[8:9]
	v_rcp_f64_e32 v[2:3], v[0:1]
	v_nop
	s_delay_alu instid0(TRANS32_DEP_1) | instskip(NEXT) | instid1(VALU_DEP_1)
	v_fma_f64 v[4:5], -v[0:1], v[2:3], 1.0
	v_fmac_f64_e32 v[2:3], v[2:3], v[4:5]
	s_delay_alu instid0(VALU_DEP_1) | instskip(NEXT) | instid1(VALU_DEP_1)
	v_fma_f64 v[4:5], -v[0:1], v[2:3], 1.0
	v_fmac_f64_e32 v[2:3], v[2:3], v[4:5]
	s_delay_alu instid0(VALU_DEP_1) | instskip(NEXT) | instid1(VALU_DEP_1)
	v_mul_f64_e32 v[4:5], v[6:7], v[2:3]
	v_fma_f64 v[0:1], -v[0:1], v[4:5], v[6:7]
	s_delay_alu instid0(VALU_DEP_1) | instskip(NEXT) | instid1(VALU_DEP_1)
	v_div_fmas_f64 v[0:1], v[0:1], v[2:3], v[4:5]
	v_div_fixup_f64 v[0:1], v[0:1], v[14:15], s[8:9]
	s_mov_b64 s[8:9], 0x3fe921fb54442d15
	s_delay_alu instid0(VALU_DEP_1) | instskip(NEXT) | instid1(VALU_DEP_1)
	v_add_f64_e32 v[0:1], 0x3fcd6df81930dd58, v[0:1]
	v_div_scale_f64 v[2:3], null, v[14:15], v[14:15], v[0:1]
	v_div_scale_f64 v[18:19], vcc_lo, v[0:1], v[14:15], v[0:1]
	s_delay_alu instid0(VALU_DEP_2) | instskip(SKIP_1) | instid1(TRANS32_DEP_1)
	v_rcp_f64_e32 v[4:5], v[2:3]
	v_nop
	v_fma_f64 v[6:7], -v[2:3], v[4:5], 1.0
	s_delay_alu instid0(VALU_DEP_1) | instskip(NEXT) | instid1(VALU_DEP_1)
	v_fmac_f64_e32 v[4:5], v[4:5], v[6:7]
	v_fma_f64 v[6:7], -v[2:3], v[4:5], 1.0
	s_delay_alu instid0(VALU_DEP_1) | instskip(NEXT) | instid1(VALU_DEP_1)
	v_fmac_f64_e32 v[4:5], v[4:5], v[6:7]
	v_mul_f64_e32 v[6:7], v[18:19], v[4:5]
	s_delay_alu instid0(VALU_DEP_1) | instskip(NEXT) | instid1(VALU_DEP_1)
	v_fma_f64 v[2:3], -v[2:3], v[6:7], v[18:19]
	v_div_fmas_f64 v[2:3], v[2:3], v[4:5], v[6:7]
	v_div_scale_f64 v[4:5], null, v[14:15], v[14:15], s[8:9]
	s_delay_alu instid0(VALU_DEP_2) | instskip(NEXT) | instid1(VALU_DEP_2)
	v_div_fixup_f64 v[0:1], v[2:3], v[14:15], v[0:1]
	v_rcp_f64_e32 v[18:19], v[4:5]
	s_delay_alu instid0(VALU_DEP_1) | instskip(NEXT) | instid1(TRANS32_DEP_1)
	v_add_f64_e32 v[0:1], 0xbfdfee97a84e6e89, v[0:1]
	v_fma_f64 v[34:35], -v[4:5], v[18:19], 1.0
	s_delay_alu instid0(VALU_DEP_2) | instskip(SKIP_1) | instid1(VALU_DEP_3)
	v_div_scale_f64 v[2:3], null, v[14:15], v[14:15], v[0:1]
	v_div_scale_f64 v[48:49], vcc_lo, v[0:1], v[14:15], v[0:1]
	v_fmac_f64_e32 v[18:19], v[18:19], v[34:35]
	s_delay_alu instid0(VALU_DEP_3) | instskip(NEXT) | instid1(VALU_DEP_1)
	v_rcp_f64_e32 v[6:7], v[2:3]
	v_fma_f64 v[34:35], -v[4:5], v[18:19], 1.0
	s_delay_alu instid0(TRANS32_DEP_1) | instskip(NEXT) | instid1(VALU_DEP_2)
	v_fma_f64 v[30:31], -v[2:3], v[6:7], 1.0
	v_fmac_f64_e32 v[18:19], v[18:19], v[34:35]
	s_delay_alu instid0(VALU_DEP_2) | instskip(NEXT) | instid1(VALU_DEP_1)
	v_fmac_f64_e32 v[6:7], v[6:7], v[30:31]
	v_fma_f64 v[30:31], -v[2:3], v[6:7], 1.0
	s_delay_alu instid0(VALU_DEP_1) | instskip(SKIP_1) | instid1(VALU_DEP_2)
	v_fmac_f64_e32 v[6:7], v[6:7], v[30:31]
	v_div_scale_f64 v[30:31], s0, s[8:9], v[14:15], s[8:9]
	v_mul_f64_e32 v[34:35], v[48:49], v[6:7]
	s_delay_alu instid0(VALU_DEP_2) | instskip(NEXT) | instid1(VALU_DEP_2)
	v_mul_f64_e32 v[50:51], v[30:31], v[18:19]
	v_fma_f64 v[2:3], -v[2:3], v[34:35], v[48:49]
	s_delay_alu instid0(VALU_DEP_2) | instskip(NEXT) | instid1(VALU_DEP_2)
	v_fma_f64 v[4:5], -v[4:5], v[50:51], v[30:31]
	v_div_fmas_f64 v[2:3], v[2:3], v[6:7], v[34:35]
	s_mov_b32 vcc_lo, s0
	s_delay_alu instid0(VALU_DEP_2) | instskip(SKIP_1) | instid1(VALU_DEP_3)
	v_div_fmas_f64 v[4:5], v[4:5], v[18:19], v[50:51]
	v_mul_f64_e32 v[18:19], 0xbff71547652b82fe, v[14:15]
	v_div_fixup_f64 v[0:1], v[2:3], v[14:15], v[0:1]
	s_delay_alu instid0(VALU_DEP_3) | instskip(NEXT) | instid1(VALU_DEP_3)
	v_div_fixup_f64 v[4:5], v[4:5], v[14:15], s[8:9]
	v_rndne_f64_e32 v[18:19], v[18:19]
	s_mov_b64 s[8:9], 0xbfe62e42fefa39ef
	s_delay_alu instid0(VALU_DEP_3) | instskip(NEXT) | instid1(VALU_DEP_3)
	v_add_f64_e32 v[0:1], 0xbef6fb2b3edd2a8f, v[0:1]
	v_cmp_gt_f64_e32 vcc_lo, 0x10000000, v[4:5]
	s_delay_alu instid0(VALU_DEP_3) | instskip(SKIP_3) | instid1(VALU_DEP_3)
	v_fma_f64 v[48:49], v[18:19], s[8:9], -v[14:15]
	s_mov_b64 s[8:9], 0x3e5ade156a5dcb37
	v_cndmask_b32_e64 v6, 0, 0x100, vcc_lo
	v_cndmask_b32_e64 v2, 0, 0xffffff80, vcc_lo
	v_fmamk_f64 v[48:49], v[18:19], 0xbc7abc9e3b39803f, v[48:49]
	v_cvt_i32_f64_e32 v18, v[18:19]
	s_delay_alu instid0(VALU_DEP_4) | instskip(NEXT) | instid1(VALU_DEP_3)
	v_ldexp_f64 v[4:5], v[4:5], v6
	v_fmaak_f64 v[50:51], s[8:9], v[48:49], 0x3e928af3fca7ab0c
	s_delay_alu instid0(VALU_DEP_1) | instskip(NEXT) | instid1(VALU_DEP_1)
	v_fmaak_f64 v[50:51], v[48:49], v[50:51], 0x3ec71dee623fde64
	v_fmaak_f64 v[50:51], v[48:49], v[50:51], 0x3efa01997c89e6b0
	s_delay_alu instid0(VALU_DEP_1) | instskip(SKIP_2) | instid1(TRANS32_DEP_1)
	v_fmaak_f64 v[50:51], v[48:49], v[50:51], 0x3f2a01a014761f6e
	v_rsq_f64_e32 v[6:7], v[4:5]
	v_cmp_class_f64_e64 vcc_lo, v[4:5], 0x260
	v_mul_f64_e32 v[30:31], v[4:5], v[6:7]
	v_mul_f64_e32 v[6:7], 0.5, v[6:7]
	s_delay_alu instid0(VALU_DEP_1) | instskip(NEXT) | instid1(VALU_DEP_1)
	v_fma_f64 v[34:35], -v[6:7], v[30:31], 0.5
	v_fmac_f64_e32 v[30:31], v[30:31], v[34:35]
	v_fmac_f64_e32 v[6:7], v[6:7], v[34:35]
	s_delay_alu instid0(VALU_DEP_2) | instskip(NEXT) | instid1(VALU_DEP_1)
	v_fma_f64 v[34:35], -v[30:31], v[30:31], v[4:5]
	v_fmac_f64_e32 v[30:31], v[34:35], v[6:7]
	v_fmaak_f64 v[34:35], v[48:49], v[50:51], 0x3f56c16c1852b7b0
	s_delay_alu instid0(VALU_DEP_1) | instskip(NEXT) | instid1(VALU_DEP_1)
	v_fmaak_f64 v[34:35], v[48:49], v[34:35], 0x3f81111111122322
	v_fmaak_f64 v[34:35], v[48:49], v[34:35], 0x3fa55555555502a1
	s_delay_alu instid0(VALU_DEP_1) | instskip(NEXT) | instid1(VALU_DEP_1)
	v_fmaak_f64 v[34:35], v[48:49], v[34:35], 0x3fc5555555555511
	v_fmaak_f64 v[34:35], v[48:49], v[34:35], 0x3fe000000000000b
	v_fma_f64 v[50:51], -v[30:31], v[30:31], v[4:5]
	s_delay_alu instid0(VALU_DEP_2) | instskip(NEXT) | instid1(VALU_DEP_2)
	v_fma_f64 v[34:35], v[48:49], v[34:35], 1.0
	v_fmac_f64_e32 v[30:31], v[50:51], v[6:7]
	v_add_f64_e32 v[50:51], v[14:15], v[14:15]
	s_delay_alu instid0(VALU_DEP_3) | instskip(NEXT) | instid1(VALU_DEP_3)
	v_fma_f64 v[6:7], v[48:49], v[34:35], 1.0
	v_ldexp_f64 v[2:3], v[30:31], v2
	s_delay_alu instid0(VALU_DEP_2) | instskip(NEXT) | instid1(VALU_DEP_2)
	v_ldexp_f64 v[48:49], v[6:7], v18
	v_dual_cndmask_b32 v5, v3, v5 :: v_dual_cndmask_b32 v4, v2, v4
	s_delay_alu instid0(VALU_DEP_1) | instskip(NEXT) | instid1(VALU_DEP_1)
	v_fmac_f64_e32 v[4:5], v[0:1], v[48:49]
	v_add_f64_e64 v[0:1], v[4:5], -v[48:49]
	s_delay_alu instid0(VALU_DEP_1) | instskip(NEXT) | instid1(VALU_DEP_1)
	v_div_scale_f64 v[2:3], null, v[50:51], v[50:51], v[0:1]
	v_rcp_f64_e32 v[6:7], v[2:3]
	v_nop
	s_delay_alu instid0(TRANS32_DEP_1) | instskip(NEXT) | instid1(VALU_DEP_1)
	v_fma_f64 v[18:19], -v[2:3], v[6:7], 1.0
	v_fmac_f64_e32 v[6:7], v[6:7], v[18:19]
	s_delay_alu instid0(VALU_DEP_1) | instskip(NEXT) | instid1(VALU_DEP_1)
	v_fma_f64 v[18:19], -v[2:3], v[6:7], 1.0
	v_fmac_f64_e32 v[6:7], v[6:7], v[18:19]
	v_div_scale_f64 v[18:19], vcc_lo, v[0:1], v[50:51], v[0:1]
	s_delay_alu instid0(VALU_DEP_1) | instskip(NEXT) | instid1(VALU_DEP_1)
	v_mul_f64_e32 v[30:31], v[18:19], v[6:7]
	v_fma_f64 v[2:3], -v[2:3], v[30:31], v[18:19]
                                        ; implicit-def: $vgpr18_vgpr19
	s_delay_alu instid0(VALU_DEP_1) | instskip(NEXT) | instid1(VALU_DEP_1)
	v_div_fmas_f64 v[2:3], v[2:3], v[6:7], v[30:31]
                                        ; implicit-def: $vgpr30_vgpr31
                                        ; implicit-def: $vgpr6_vgpr7
	v_div_fixup_f64 v[34:35], v[2:3], v[50:51], v[0:1]
	scratch_load_b32 v0, off, s33 offset:744 ; 4-byte Folded Reload
                                        ; implicit-def: $vgpr2_vgpr3
	s_wait_loadcnt 0x0
	v_cmp_lt_i32_e32 vcc_lo, 0, v0
                                        ; implicit-def: $vgpr0_vgpr1
	s_wait_xcnt 0x0
	s_and_saveexec_b32 s0, vcc_lo
	s_delay_alu instid0(SALU_CYCLE_1)
	s_xor_b32 s0, exec_lo, s0
	s_cbranch_execz .LBB0_139
; %bb.132:
	scratch_load_b32 v0, off, s33 offset:744 ; 4-byte Folded Reload
                                        ; implicit-def: $vgpr18_vgpr19
                                        ; implicit-def: $vgpr30_vgpr31
                                        ; implicit-def: $vgpr6_vgpr7
                                        ; implicit-def: $vgpr2_vgpr3
	s_wait_loadcnt 0x0
	v_cmp_lt_i32_e32 vcc_lo, 1, v0
                                        ; implicit-def: $vgpr0_vgpr1
	s_wait_xcnt 0x0
	s_and_saveexec_b32 s8, vcc_lo
	s_delay_alu instid0(SALU_CYCLE_1)
	s_xor_b32 s8, exec_lo, s8
	s_cbranch_execz .LBB0_136
; %bb.133:
	scratch_load_b32 v52, off, s33 offset:744 ; 4-byte Folded Reload
	v_mov_b64_e32 v[18:19], 0
	v_mov_b64_e32 v[30:31], 0
	;; [unrolled: 1-line block ×5, first 2 shown]
	s_mov_b32 s9, exec_lo
	s_wait_loadcnt 0x0
	v_cmpx_eq_u32_e32 2, v52
	s_cbranch_execz .LBB0_135
; %bb.134:
	v_fma_f64 v[0:1], 2.0, v[34:35], v[34:35]
	s_mov_b64 s[10:11], 0x3cbfdbea10f47019
	s_delay_alu instid0(VALU_DEP_1) | instskip(NEXT) | instid1(VALU_DEP_1)
	v_add_f64_e64 v[0:1], v[0:1], -v[48:49]
	v_div_scale_f64 v[2:3], null, v[50:51], v[50:51], v[0:1]
	s_delay_alu instid0(VALU_DEP_1) | instskip(SKIP_1) | instid1(TRANS32_DEP_1)
	v_rcp_f64_e32 v[6:7], v[2:3]
	v_nop
	v_fma_f64 v[18:19], -v[2:3], v[6:7], 1.0
	s_delay_alu instid0(VALU_DEP_1) | instskip(NEXT) | instid1(VALU_DEP_1)
	v_fmac_f64_e32 v[6:7], v[6:7], v[18:19]
	v_fma_f64 v[18:19], -v[2:3], v[6:7], 1.0
	s_delay_alu instid0(VALU_DEP_1) | instskip(SKIP_1) | instid1(VALU_DEP_1)
	v_fmac_f64_e32 v[6:7], v[6:7], v[18:19]
	v_div_scale_f64 v[18:19], vcc_lo, v[0:1], v[50:51], v[0:1]
	v_mul_f64_e32 v[30:31], v[18:19], v[6:7]
	s_delay_alu instid0(VALU_DEP_1) | instskip(NEXT) | instid1(VALU_DEP_1)
	v_fma_f64 v[2:3], -v[2:3], v[30:31], v[18:19]
	v_div_fmas_f64 v[2:3], v[2:3], v[6:7], v[30:31]
	v_add_f64_e32 v[6:7], 0xc0290000, v[14:15]
	s_delay_alu instid0(VALU_DEP_2) | instskip(NEXT) | instid1(VALU_DEP_2)
	v_div_fixup_f64 v[18:19], v[2:3], v[50:51], v[0:1]
	v_fmaak_f64 v[0:1], s[10:11], v[6:7], 0xbce8f78f94ee36f9
	s_mov_b64 s[10:11], 0x3cfedb3441bbab7c
	s_delay_alu instid0(SALU_CYCLE_1) | instskip(SKIP_1) | instid1(SALU_CYCLE_1)
	v_fmaak_f64 v[2:3], s[10:11], v[6:7], 0xbd0860a0fef600c8
	s_mov_b64 s[10:11], 0x3cece10c870dd484
	v_fmaak_f64 v[14:15], s[10:11], v[6:7], 0xbd1ec9e9d5d0b913
	s_delay_alu instid0(VALU_DEP_3) | instskip(NEXT) | instid1(VALU_DEP_3)
	v_fmaak_f64 v[0:1], v[6:7], v[0:1], 0xbd26fdb3ae4086c1
	v_fmaak_f64 v[2:3], v[6:7], v[2:3], 0xbd6e2f6cfc8f075b
	s_delay_alu instid0(VALU_DEP_3) | instskip(NEXT) | instid1(VALU_DEP_3)
	v_fmaak_f64 v[14:15], v[6:7], v[14:15], 0xbd5637633978e7de
	;; [unrolled: 3-line block ×16, first 2 shown]
	v_fmaak_f64 v[2:3], v[6:7], v[2:3], 0x3fc521459a7ad92a
	s_delay_alu instid0(VALU_DEP_3) | instskip(NEXT) | instid1(VALU_DEP_1)
	v_fmaak_f64 v[14:15], v[6:7], v[14:15], 0xbfb9f89abd64c8d3
	v_fmaak_f64 v[6:7], v[6:7], v[14:15], 0x3fe8dedacaa59aba
	s_delay_alu instid0(VALU_DEP_4) | instskip(NEXT) | instid1(VALU_DEP_1)
	v_add_f64_e32 v[14:15], 1.0, v[0:1]
	v_div_scale_f64 v[30:31], null, v[14:15], v[14:15], v[0:1]
	s_delay_alu instid0(VALU_DEP_1) | instskip(SKIP_1) | instid1(TRANS32_DEP_1)
	v_rcp_f64_e32 v[48:49], v[30:31]
	v_nop
	v_fma_f64 v[50:51], -v[30:31], v[48:49], 1.0
	s_delay_alu instid0(VALU_DEP_1) | instskip(NEXT) | instid1(VALU_DEP_1)
	v_fmac_f64_e32 v[48:49], v[48:49], v[50:51]
	v_fma_f64 v[50:51], -v[30:31], v[48:49], 1.0
	s_delay_alu instid0(VALU_DEP_1) | instskip(SKIP_1) | instid1(VALU_DEP_1)
	v_fmac_f64_e32 v[48:49], v[48:49], v[50:51]
	v_div_scale_f64 v[50:51], vcc_lo, v[0:1], v[14:15], v[0:1]
	v_mul_f64_e32 v[52:53], v[50:51], v[48:49]
	s_delay_alu instid0(VALU_DEP_1) | instskip(NEXT) | instid1(VALU_DEP_1)
	v_fma_f64 v[30:31], -v[30:31], v[52:53], v[50:51]
	v_div_fmas_f64 v[30:31], v[30:31], v[48:49], v[52:53]
	s_delay_alu instid0(VALU_DEP_1) | instskip(SKIP_1) | instid1(VALU_DEP_1)
	v_div_fixup_f64 v[14:15], v[30:31], v[14:15], v[0:1]
	v_add_f64_e32 v[30:31], 1.0, v[2:3]
	v_div_scale_f64 v[48:49], null, v[30:31], v[30:31], v[2:3]
	s_delay_alu instid0(VALU_DEP_1) | instskip(SKIP_1) | instid1(TRANS32_DEP_1)
	v_rcp_f64_e32 v[50:51], v[48:49]
	v_nop
	v_fma_f64 v[52:53], -v[48:49], v[50:51], 1.0
	s_delay_alu instid0(VALU_DEP_1) | instskip(NEXT) | instid1(VALU_DEP_1)
	v_fmac_f64_e32 v[50:51], v[50:51], v[52:53]
	v_fma_f64 v[52:53], -v[48:49], v[50:51], 1.0
	s_delay_alu instid0(VALU_DEP_1) | instskip(SKIP_1) | instid1(VALU_DEP_1)
	v_fmac_f64_e32 v[50:51], v[50:51], v[52:53]
	v_div_scale_f64 v[52:53], vcc_lo, v[2:3], v[30:31], v[2:3]
	v_mul_f64_e32 v[54:55], v[52:53], v[50:51]
	s_delay_alu instid0(VALU_DEP_1) | instskip(NEXT) | instid1(VALU_DEP_1)
	v_fma_f64 v[48:49], -v[48:49], v[54:55], v[52:53]
	v_div_fmas_f64 v[48:49], v[48:49], v[50:51], v[54:55]
	s_delay_alu instid0(VALU_DEP_1) | instskip(SKIP_1) | instid1(VALU_DEP_1)
	v_div_fixup_f64 v[30:31], v[48:49], v[30:31], v[2:3]
	v_add_f64_e32 v[48:49], 1.0, v[6:7]
	v_div_scale_f64 v[50:51], null, v[48:49], v[48:49], v[6:7]
	s_delay_alu instid0(VALU_DEP_1) | instskip(SKIP_1) | instid1(TRANS32_DEP_1)
	v_rcp_f64_e32 v[52:53], v[50:51]
	v_nop
	v_fma_f64 v[54:55], -v[50:51], v[52:53], 1.0
	s_delay_alu instid0(VALU_DEP_1) | instskip(NEXT) | instid1(VALU_DEP_1)
	v_fmac_f64_e32 v[52:53], v[52:53], v[54:55]
	v_fma_f64 v[54:55], -v[50:51], v[52:53], 1.0
	s_delay_alu instid0(VALU_DEP_1) | instskip(SKIP_1) | instid1(VALU_DEP_1)
	v_fmac_f64_e32 v[52:53], v[52:53], v[54:55]
	v_div_scale_f64 v[54:55], vcc_lo, v[6:7], v[48:49], v[6:7]
	v_mul_f64_e32 v[98:99], v[54:55], v[52:53]
	s_delay_alu instid0(VALU_DEP_1) | instskip(NEXT) | instid1(VALU_DEP_1)
	v_fma_f64 v[50:51], -v[50:51], v[98:99], v[54:55]
	v_div_fmas_f64 v[50:51], v[50:51], v[52:53], v[98:99]
	s_delay_alu instid0(VALU_DEP_1) | instskip(SKIP_2) | instid1(VALU_DEP_3)
	v_div_fixup_f64 v[48:49], v[50:51], v[48:49], v[6:7]
	v_fma_f64 v[50:51], -v[34:35], v[14:15], v[18:19]
	v_fma_f64 v[34:35], -v[4:5], v[14:15], v[34:35]
	v_add_f64_e64 v[52:53], v[48:49], -v[30:31]
	v_add_f64_e64 v[54:55], v[48:49], -v[14:15]
	s_delay_alu instid0(VALU_DEP_3) | instskip(SKIP_2) | instid1(VALU_DEP_4)
	v_fma_f64 v[18:19], -v[30:31], v[34:35], v[50:51]
	v_add_f64_e64 v[14:15], v[30:31], -v[14:15]
	v_fma_f64 v[34:35], v[48:49], v[34:35], -v[50:51]
	v_mul_f64_e32 v[54:55], v[52:53], v[54:55]
	s_delay_alu instid0(VALU_DEP_3) | instskip(NEXT) | instid1(VALU_DEP_2)
	v_mul_f64_e32 v[14:15], v[14:15], v[52:53]
	v_div_scale_f64 v[98:99], null, v[54:55], v[54:55], v[18:19]
	s_delay_alu instid0(VALU_DEP_2) | instskip(NEXT) | instid1(VALU_DEP_2)
	v_div_scale_f64 v[30:31], null, v[14:15], v[14:15], v[34:35]
	v_rcp_f64_e32 v[100:101], v[98:99]
	s_delay_alu instid0(VALU_DEP_1) | instskip(NEXT) | instid1(TRANS32_DEP_2)
	v_rcp_f64_e32 v[48:49], v[30:31]
	v_fma_f64 v[102:103], -v[98:99], v[100:101], 1.0
	s_delay_alu instid0(TRANS32_DEP_1) | instskip(NEXT) | instid1(VALU_DEP_2)
	v_fma_f64 v[50:51], -v[30:31], v[48:49], 1.0
	v_fmac_f64_e32 v[100:101], v[100:101], v[102:103]
	s_delay_alu instid0(VALU_DEP_2) | instskip(NEXT) | instid1(VALU_DEP_2)
	v_fmac_f64_e32 v[48:49], v[48:49], v[50:51]
	v_fma_f64 v[102:103], -v[98:99], v[100:101], 1.0
	s_delay_alu instid0(VALU_DEP_2) | instskip(NEXT) | instid1(VALU_DEP_2)
	v_fma_f64 v[50:51], -v[30:31], v[48:49], 1.0
	v_fmac_f64_e32 v[100:101], v[100:101], v[102:103]
	v_div_scale_f64 v[102:103], vcc_lo, v[18:19], v[54:55], v[18:19]
	s_delay_alu instid0(VALU_DEP_3) | instskip(NEXT) | instid1(VALU_DEP_2)
	v_fmac_f64_e32 v[48:49], v[48:49], v[50:51]
	v_mul_f64_e32 v[112:113], v[102:103], v[100:101]
	s_delay_alu instid0(VALU_DEP_1) | instskip(NEXT) | instid1(VALU_DEP_1)
	v_fma_f64 v[98:99], -v[98:99], v[112:113], v[102:103]
	v_div_fmas_f64 v[98:99], v[98:99], v[100:101], v[112:113]
	v_div_scale_f64 v[50:51], vcc_lo, v[34:35], v[14:15], v[34:35]
	s_delay_alu instid0(VALU_DEP_2) | instskip(NEXT) | instid1(VALU_DEP_2)
	v_div_fixup_f64 v[18:19], v[98:99], v[54:55], v[18:19]
	v_mul_f64_e32 v[52:53], v[50:51], v[48:49]
	s_delay_alu instid0(VALU_DEP_1) | instskip(NEXT) | instid1(VALU_DEP_1)
	v_fma_f64 v[30:31], -v[30:31], v[52:53], v[50:51]
	v_div_fmas_f64 v[30:31], v[30:31], v[48:49], v[52:53]
	s_delay_alu instid0(VALU_DEP_1) | instskip(NEXT) | instid1(VALU_DEP_1)
	v_div_fixup_f64 v[30:31], v[30:31], v[14:15], v[34:35]
	v_add_f64_e64 v[4:5], v[4:5], -v[30:31]
	s_delay_alu instid0(VALU_DEP_1)
	v_add_f64_e64 v[4:5], v[4:5], -v[18:19]
.LBB0_135:
	s_or_b32 exec_lo, exec_lo, s9
                                        ; implicit-def: $vgpr14_vgpr15
                                        ; implicit-def: $vgpr48_vgpr49
                                        ; implicit-def: $vgpr34_vgpr35
.LBB0_136:
	s_and_not1_saveexec_b32 s8, s8
	s_cbranch_execz .LBB0_138
; %bb.137:
	s_mov_b64 s[10:11], 0xbee5309b16a4b4d6
	s_delay_alu instid0(SALU_CYCLE_1) | instskip(SKIP_1) | instid1(SALU_CYCLE_1)
	v_fmaak_f64 v[0:1], s[10:11], v[14:15], 0x3f53937b864df747
	s_mov_b64 s[10:11], 0xc0c0c00c0fb97540
	v_div_scale_f64 v[2:3], null, v[14:15], v[14:15], s[10:11]
	s_delay_alu instid0(VALU_DEP_2) | instskip(NEXT) | instid1(VALU_DEP_1)
	v_fmaak_f64 v[0:1], v[14:15], v[0:1], 0xbfb13f8e181a5cbe
	v_fmaak_f64 v[0:1], v[14:15], v[0:1], 0x3ff41ce672eb3b81
	s_delay_alu instid0(VALU_DEP_3) | instskip(SKIP_1) | instid1(TRANS32_DEP_1)
	v_rcp_f64_e32 v[6:7], v[2:3]
	v_nop
	v_fma_f64 v[18:19], -v[2:3], v[6:7], 1.0
	s_delay_alu instid0(VALU_DEP_1) | instskip(NEXT) | instid1(VALU_DEP_1)
	v_fmac_f64_e32 v[6:7], v[6:7], v[18:19]
	v_fma_f64 v[18:19], -v[2:3], v[6:7], 1.0
	s_delay_alu instid0(VALU_DEP_1) | instskip(SKIP_1) | instid1(VALU_DEP_1)
	v_fmac_f64_e32 v[6:7], v[6:7], v[18:19]
	v_div_scale_f64 v[18:19], vcc_lo, s[10:11], v[14:15], s[10:11]
	v_mul_f64_e32 v[30:31], v[18:19], v[6:7]
	s_delay_alu instid0(VALU_DEP_1) | instskip(NEXT) | instid1(VALU_DEP_1)
	v_fma_f64 v[2:3], -v[2:3], v[30:31], v[18:19]
	v_div_fmas_f64 v[2:3], v[2:3], v[6:7], v[30:31]
	s_delay_alu instid0(VALU_DEP_1) | instskip(SKIP_1) | instid1(VALU_DEP_1)
	v_div_fixup_f64 v[2:3], v[2:3], v[14:15], s[10:11]
	s_mov_b64 s[10:11], 0x3fd19dc7afdb7b47
	v_add_f64_e32 v[2:3], 0x40b7160f34922721, v[2:3]
	s_delay_alu instid0(VALU_DEP_1) | instskip(NEXT) | instid1(VALU_DEP_1)
	v_div_scale_f64 v[6:7], null, v[14:15], v[14:15], v[2:3]
	v_rcp_f64_e32 v[18:19], v[6:7]
	v_nop
	s_delay_alu instid0(TRANS32_DEP_1) | instskip(NEXT) | instid1(VALU_DEP_1)
	v_fma_f64 v[30:31], -v[6:7], v[18:19], 1.0
	v_fmac_f64_e32 v[18:19], v[18:19], v[30:31]
	s_delay_alu instid0(VALU_DEP_1) | instskip(NEXT) | instid1(VALU_DEP_1)
	v_fma_f64 v[30:31], -v[6:7], v[18:19], 1.0
	v_fmac_f64_e32 v[18:19], v[18:19], v[30:31]
	v_div_scale_f64 v[30:31], vcc_lo, v[2:3], v[14:15], v[2:3]
	s_delay_alu instid0(VALU_DEP_1) | instskip(NEXT) | instid1(VALU_DEP_1)
	v_mul_f64_e32 v[50:51], v[30:31], v[18:19]
	v_fma_f64 v[6:7], -v[6:7], v[50:51], v[30:31]
	s_delay_alu instid0(VALU_DEP_1) | instskip(NEXT) | instid1(VALU_DEP_1)
	v_div_fmas_f64 v[6:7], v[6:7], v[18:19], v[50:51]
	v_div_fixup_f64 v[2:3], v[6:7], v[14:15], v[2:3]
	s_delay_alu instid0(VALU_DEP_1) | instskip(NEXT) | instid1(VALU_DEP_1)
	v_add_f64_e32 v[2:3], 0xc09ab04e9d14ec54, v[2:3]
	v_div_scale_f64 v[6:7], null, v[14:15], v[14:15], v[2:3]
	s_delay_alu instid0(VALU_DEP_1) | instskip(SKIP_1) | instid1(TRANS32_DEP_1)
	v_rcp_f64_e32 v[18:19], v[6:7]
	v_nop
	v_fma_f64 v[30:31], -v[6:7], v[18:19], 1.0
	s_delay_alu instid0(VALU_DEP_1) | instskip(NEXT) | instid1(VALU_DEP_1)
	v_fmac_f64_e32 v[18:19], v[18:19], v[30:31]
	v_fma_f64 v[30:31], -v[6:7], v[18:19], 1.0
	s_delay_alu instid0(VALU_DEP_1) | instskip(SKIP_1) | instid1(VALU_DEP_1)
	v_fmac_f64_e32 v[18:19], v[18:19], v[30:31]
	v_div_scale_f64 v[30:31], vcc_lo, v[2:3], v[14:15], v[2:3]
	v_mul_f64_e32 v[50:51], v[30:31], v[18:19]
	s_delay_alu instid0(VALU_DEP_1) | instskip(NEXT) | instid1(VALU_DEP_1)
	v_fma_f64 v[6:7], -v[6:7], v[50:51], v[30:31]
	v_div_fmas_f64 v[6:7], v[6:7], v[18:19], v[50:51]
	s_delay_alu instid0(VALU_DEP_1) | instskip(NEXT) | instid1(VALU_DEP_1)
	v_div_fixup_f64 v[2:3], v[6:7], v[14:15], v[2:3]
	v_add_f64_e32 v[2:3], 0x4070889648360283, v[2:3]
	s_delay_alu instid0(VALU_DEP_1) | instskip(NEXT) | instid1(VALU_DEP_1)
	v_div_scale_f64 v[6:7], null, v[14:15], v[14:15], v[2:3]
	v_rcp_f64_e32 v[18:19], v[6:7]
	v_nop
	s_delay_alu instid0(TRANS32_DEP_1) | instskip(NEXT) | instid1(VALU_DEP_1)
	v_fma_f64 v[30:31], -v[6:7], v[18:19], 1.0
	v_fmac_f64_e32 v[18:19], v[18:19], v[30:31]
	s_delay_alu instid0(VALU_DEP_1) | instskip(NEXT) | instid1(VALU_DEP_1)
	v_fma_f64 v[30:31], -v[6:7], v[18:19], 1.0
	v_fmac_f64_e32 v[18:19], v[18:19], v[30:31]
	v_div_scale_f64 v[30:31], vcc_lo, v[2:3], v[14:15], v[2:3]
	s_delay_alu instid0(VALU_DEP_1) | instskip(NEXT) | instid1(VALU_DEP_1)
	v_mul_f64_e32 v[50:51], v[30:31], v[18:19]
	v_fma_f64 v[6:7], -v[6:7], v[50:51], v[30:31]
	s_delay_alu instid0(VALU_DEP_1) | instskip(NEXT) | instid1(VALU_DEP_1)
	v_div_fmas_f64 v[6:7], v[6:7], v[18:19], v[50:51]
	v_div_fixup_f64 v[2:3], v[6:7], v[14:15], v[2:3]
	s_delay_alu instid0(VALU_DEP_1) | instskip(SKIP_1) | instid1(VALU_DEP_2)
	v_fmac_f64_e32 v[2:3], v[14:15], v[0:1]
	v_add_f64_e32 v[0:1], 0xbfd19dc7afdb7b47, v[14:15]
	v_add_f64_e32 v[2:3], 0xc037db679b15dddc, v[2:3]
	s_delay_alu instid0(VALU_DEP_2) | instskip(NEXT) | instid1(VALU_DEP_1)
	v_div_scale_f64 v[6:7], null, v[0:1], v[0:1], s[10:11]
	v_rcp_f64_e32 v[18:19], v[6:7]
	v_nop
	s_delay_alu instid0(TRANS32_DEP_1) | instskip(NEXT) | instid1(VALU_DEP_1)
	v_fma_f64 v[30:31], -v[6:7], v[18:19], 1.0
	v_fmac_f64_e32 v[18:19], v[18:19], v[30:31]
	s_delay_alu instid0(VALU_DEP_1) | instskip(NEXT) | instid1(VALU_DEP_1)
	v_fma_f64 v[30:31], -v[6:7], v[18:19], 1.0
	v_fmac_f64_e32 v[18:19], v[18:19], v[30:31]
	v_div_scale_f64 v[30:31], vcc_lo, s[10:11], v[0:1], s[10:11]
	s_delay_alu instid0(VALU_DEP_1) | instskip(NEXT) | instid1(VALU_DEP_1)
	v_mul_f64_e32 v[50:51], v[30:31], v[18:19]
	v_fma_f64 v[6:7], -v[6:7], v[50:51], v[30:31]
	s_delay_alu instid0(VALU_DEP_1) | instskip(NEXT) | instid1(VALU_DEP_1)
	v_div_fmas_f64 v[6:7], v[6:7], v[18:19], v[50:51]
	v_div_fixup_f64 v[0:1], v[6:7], v[0:1], s[10:11]
	s_mov_b64 s[10:11], 0x3f3637e1f5a2d1e4
	s_delay_alu instid0(VALU_DEP_1) | instskip(SKIP_2) | instid1(SALU_CYCLE_1)
	v_fmac_f64_e32 v[0:1], v[2:3], v[48:49]
	v_fmaak_f64 v[2:3], s[10:11], v[14:15], 0xbfb7ef7629a9a022
	s_mov_b64 s[10:11], 0xc0a0492419de963f
	v_div_scale_f64 v[6:7], null, v[14:15], v[14:15], s[10:11]
	s_delay_alu instid0(VALU_DEP_2) | instskip(NEXT) | instid1(VALU_DEP_2)
	v_fmaak_f64 v[2:3], v[14:15], v[2:3], 0xc010e37f2d914f9c
	v_rcp_f64_e32 v[18:19], v[6:7]
	v_nop
	s_delay_alu instid0(TRANS32_DEP_1) | instskip(NEXT) | instid1(VALU_DEP_1)
	v_fma_f64 v[30:31], -v[6:7], v[18:19], 1.0
	v_fmac_f64_e32 v[18:19], v[18:19], v[30:31]
	s_delay_alu instid0(VALU_DEP_1) | instskip(NEXT) | instid1(VALU_DEP_1)
	v_fma_f64 v[30:31], -v[6:7], v[18:19], 1.0
	v_fmac_f64_e32 v[18:19], v[18:19], v[30:31]
	v_div_scale_f64 v[30:31], vcc_lo, s[10:11], v[14:15], s[10:11]
	s_delay_alu instid0(VALU_DEP_1) | instskip(NEXT) | instid1(VALU_DEP_1)
	v_mul_f64_e32 v[50:51], v[30:31], v[18:19]
	v_fma_f64 v[6:7], -v[6:7], v[50:51], v[30:31]
	s_delay_alu instid0(VALU_DEP_1) | instskip(NEXT) | instid1(VALU_DEP_1)
	v_div_fmas_f64 v[6:7], v[6:7], v[18:19], v[50:51]
	v_div_fixup_f64 v[6:7], v[6:7], v[14:15], s[10:11]
	s_mov_b64 s[10:11], 0x4005cc470a049083
	s_delay_alu instid0(VALU_DEP_1) | instskip(NEXT) | instid1(VALU_DEP_1)
	v_add_f64_e32 v[6:7], 0xc09067f67f0e6f2c, v[6:7]
	v_div_scale_f64 v[18:19], null, v[14:15], v[14:15], v[6:7]
	s_delay_alu instid0(VALU_DEP_1) | instskip(SKIP_1) | instid1(TRANS32_DEP_1)
	v_rcp_f64_e32 v[30:31], v[18:19]
	v_nop
	v_fma_f64 v[50:51], -v[18:19], v[30:31], 1.0
	s_delay_alu instid0(VALU_DEP_1) | instskip(NEXT) | instid1(VALU_DEP_1)
	v_fmac_f64_e32 v[30:31], v[30:31], v[50:51]
	v_fma_f64 v[50:51], -v[18:19], v[30:31], 1.0
	s_delay_alu instid0(VALU_DEP_1) | instskip(SKIP_1) | instid1(VALU_DEP_1)
	v_fmac_f64_e32 v[30:31], v[30:31], v[50:51]
	v_div_scale_f64 v[50:51], vcc_lo, v[6:7], v[14:15], v[6:7]
	v_mul_f64_e32 v[52:53], v[50:51], v[30:31]
	s_delay_alu instid0(VALU_DEP_1) | instskip(NEXT) | instid1(VALU_DEP_1)
	v_fma_f64 v[18:19], -v[18:19], v[52:53], v[50:51]
	v_div_fmas_f64 v[18:19], v[18:19], v[30:31], v[52:53]
	s_delay_alu instid0(VALU_DEP_1) | instskip(NEXT) | instid1(VALU_DEP_1)
	v_div_fixup_f64 v[6:7], v[18:19], v[14:15], v[6:7]
	v_add_f64_e32 v[6:7], 0x40753e439eeef91a, v[6:7]
	s_delay_alu instid0(VALU_DEP_1) | instskip(NEXT) | instid1(VALU_DEP_1)
	v_div_scale_f64 v[18:19], null, v[14:15], v[14:15], v[6:7]
	v_rcp_f64_e32 v[30:31], v[18:19]
	v_nop
	s_delay_alu instid0(TRANS32_DEP_1) | instskip(NEXT) | instid1(VALU_DEP_1)
	v_fma_f64 v[50:51], -v[18:19], v[30:31], 1.0
	v_fmac_f64_e32 v[30:31], v[30:31], v[50:51]
	s_delay_alu instid0(VALU_DEP_1) | instskip(NEXT) | instid1(VALU_DEP_1)
	v_fma_f64 v[50:51], -v[18:19], v[30:31], 1.0
	v_fmac_f64_e32 v[30:31], v[30:31], v[50:51]
	v_div_scale_f64 v[50:51], vcc_lo, v[6:7], v[14:15], v[6:7]
	s_delay_alu instid0(VALU_DEP_1) | instskip(NEXT) | instid1(VALU_DEP_1)
	v_mul_f64_e32 v[52:53], v[50:51], v[30:31]
	v_fma_f64 v[18:19], -v[18:19], v[52:53], v[50:51]
	s_delay_alu instid0(VALU_DEP_1) | instskip(NEXT) | instid1(VALU_DEP_1)
	v_div_fmas_f64 v[18:19], v[18:19], v[30:31], v[52:53]
	v_div_fixup_f64 v[6:7], v[18:19], v[14:15], v[6:7]
	s_delay_alu instid0(VALU_DEP_1) | instskip(NEXT) | instid1(VALU_DEP_1)
	v_add_f64_e32 v[6:7], 0xc06385e9e25f0df2, v[6:7]
	v_div_scale_f64 v[18:19], null, v[14:15], v[14:15], v[6:7]
	s_delay_alu instid0(VALU_DEP_1) | instskip(SKIP_1) | instid1(TRANS32_DEP_1)
	v_rcp_f64_e32 v[30:31], v[18:19]
	v_nop
	v_fma_f64 v[50:51], -v[18:19], v[30:31], 1.0
	s_delay_alu instid0(VALU_DEP_1) | instskip(NEXT) | instid1(VALU_DEP_1)
	v_fmac_f64_e32 v[30:31], v[30:31], v[50:51]
	v_fma_f64 v[50:51], -v[18:19], v[30:31], 1.0
	s_delay_alu instid0(VALU_DEP_1) | instskip(SKIP_1) | instid1(VALU_DEP_1)
	v_fmac_f64_e32 v[30:31], v[30:31], v[50:51]
	v_div_scale_f64 v[50:51], vcc_lo, v[6:7], v[14:15], v[6:7]
	v_mul_f64_e32 v[52:53], v[50:51], v[30:31]
	s_delay_alu instid0(VALU_DEP_1) | instskip(NEXT) | instid1(VALU_DEP_1)
	v_fma_f64 v[18:19], -v[18:19], v[52:53], v[50:51]
	v_div_fmas_f64 v[18:19], v[18:19], v[30:31], v[52:53]
	s_delay_alu instid0(VALU_DEP_1) | instskip(NEXT) | instid1(VALU_DEP_1)
	v_div_fixup_f64 v[6:7], v[18:19], v[14:15], v[6:7]
	v_fmac_f64_e32 v[6:7], v[14:15], v[2:3]
	v_add_f64_e32 v[2:3], 0xc005cc470a049083, v[14:15]
	s_delay_alu instid0(VALU_DEP_2) | instskip(NEXT) | instid1(VALU_DEP_2)
	v_add_f64_e32 v[6:7], 0x4020044bbcdb75df, v[6:7]
	v_div_scale_f64 v[14:15], null, v[2:3], v[2:3], s[10:11]
	s_delay_alu instid0(VALU_DEP_1) | instskip(SKIP_1) | instid1(TRANS32_DEP_1)
	v_rcp_f64_e32 v[18:19], v[14:15]
	v_nop
	v_fma_f64 v[30:31], -v[14:15], v[18:19], 1.0
	s_delay_alu instid0(VALU_DEP_1) | instskip(NEXT) | instid1(VALU_DEP_1)
	v_fmac_f64_e32 v[18:19], v[18:19], v[30:31]
	v_fma_f64 v[30:31], -v[14:15], v[18:19], 1.0
	s_delay_alu instid0(VALU_DEP_1) | instskip(SKIP_1) | instid1(VALU_DEP_1)
	v_fmac_f64_e32 v[18:19], v[18:19], v[30:31]
	v_div_scale_f64 v[30:31], vcc_lo, s[10:11], v[2:3], s[10:11]
	v_mul_f64_e32 v[50:51], v[30:31], v[18:19]
	s_delay_alu instid0(VALU_DEP_1) | instskip(NEXT) | instid1(VALU_DEP_1)
	v_fma_f64 v[14:15], -v[14:15], v[50:51], v[30:31]
	v_div_fmas_f64 v[14:15], v[14:15], v[18:19], v[50:51]
	s_delay_alu instid0(VALU_DEP_1) | instskip(NEXT) | instid1(VALU_DEP_1)
	v_div_fixup_f64 v[2:3], v[14:15], v[2:3], s[10:11]
	v_fmac_f64_e32 v[2:3], v[6:7], v[48:49]
	v_add_f64_e64 v[6:7], v[34:35], -v[4:5]
	s_delay_alu instid0(VALU_DEP_2) | instskip(NEXT) | instid1(VALU_DEP_2)
	v_add_f64_e64 v[14:15], v[2:3], -v[0:1]
	v_fmac_f64_e32 v[34:35], v[0:1], v[6:7]
	v_add_f64_e32 v[6:7], 1.0, v[2:3]
	s_delay_alu instid0(VALU_DEP_1) | instskip(NEXT) | instid1(VALU_DEP_1)
	v_mul_f64_e32 v[6:7], v[6:7], v[34:35]
	v_div_scale_f64 v[18:19], null, v[14:15], v[14:15], v[6:7]
	s_delay_alu instid0(VALU_DEP_1) | instskip(SKIP_1) | instid1(TRANS32_DEP_1)
	v_rcp_f64_e32 v[30:31], v[18:19]
	v_nop
	v_fma_f64 v[34:35], -v[18:19], v[30:31], 1.0
	s_delay_alu instid0(VALU_DEP_1) | instskip(NEXT) | instid1(VALU_DEP_1)
	v_fmac_f64_e32 v[30:31], v[30:31], v[34:35]
	v_fma_f64 v[34:35], -v[18:19], v[30:31], 1.0
	s_delay_alu instid0(VALU_DEP_1) | instskip(SKIP_1) | instid1(VALU_DEP_1)
	v_fmac_f64_e32 v[30:31], v[30:31], v[34:35]
	v_div_scale_f64 v[34:35], vcc_lo, v[6:7], v[14:15], v[6:7]
	v_mul_f64_e32 v[48:49], v[34:35], v[30:31]
	s_delay_alu instid0(VALU_DEP_1) | instskip(NEXT) | instid1(VALU_DEP_1)
	v_fma_f64 v[18:19], -v[18:19], v[48:49], v[34:35]
	v_div_fmas_f64 v[18:19], v[18:19], v[30:31], v[48:49]
	s_delay_alu instid0(VALU_DEP_1) | instskip(SKIP_2) | instid1(VALU_DEP_3)
	v_div_fixup_f64 v[30:31], v[18:19], v[14:15], v[6:7]
	v_mov_b64_e32 v[18:19], 0
	v_mov_b64_e32 v[6:7], 0
	v_add_f64_e64 v[4:5], v[4:5], -v[30:31]
.LBB0_138:
	s_or_b32 exec_lo, exec_lo, s8
                                        ; implicit-def: $vgpr34_vgpr35
.LBB0_139:
	s_and_not1_saveexec_b32 s0, s0
	s_cbranch_execz .LBB0_143
; %bb.140:
	scratch_load_b32 v2, off, s33 offset:744 ; 4-byte Folded Reload
	v_mov_b64_e32 v[18:19], 0
	v_mov_b64_e32 v[0:1], 0
	s_mov_b32 s8, exec_lo
	s_wait_loadcnt 0x0
	v_cmpx_eq_u32_e32 0, v2
	s_cbranch_execz .LBB0_142
; %bb.141:
	v_add_f64_e64 v[0:1], v[4:5], -v[34:35]
	s_delay_alu instid0(VALU_DEP_1) | instskip(NEXT) | instid1(VALU_DEP_1)
	v_div_scale_f64 v[2:3], null, v[0:1], v[0:1], v[34:35]
	v_rcp_f64_e32 v[6:7], v[2:3]
	v_nop
	s_delay_alu instid0(TRANS32_DEP_1) | instskip(NEXT) | instid1(VALU_DEP_1)
	v_fma_f64 v[14:15], -v[2:3], v[6:7], 1.0
	v_fmac_f64_e32 v[6:7], v[6:7], v[14:15]
	s_delay_alu instid0(VALU_DEP_1) | instskip(NEXT) | instid1(VALU_DEP_1)
	v_fma_f64 v[14:15], -v[2:3], v[6:7], 1.0
	v_fmac_f64_e32 v[6:7], v[6:7], v[14:15]
	v_div_scale_f64 v[14:15], vcc_lo, v[34:35], v[0:1], v[34:35]
	s_delay_alu instid0(VALU_DEP_1) | instskip(NEXT) | instid1(VALU_DEP_1)
	v_mul_f64_e32 v[30:31], v[14:15], v[6:7]
	v_fma_f64 v[2:3], -v[2:3], v[30:31], v[14:15]
	s_delay_alu instid0(VALU_DEP_1) | instskip(NEXT) | instid1(VALU_DEP_1)
	v_div_fmas_f64 v[2:3], v[2:3], v[6:7], v[30:31]
	v_div_fixup_f64 v[0:1], v[2:3], v[0:1], v[34:35]
.LBB0_142:
	s_or_b32 exec_lo, exec_lo, s8
	v_mov_b64_e32 v[30:31], 0
	v_mov_b64_e32 v[6:7], 0
	;; [unrolled: 1-line block ×3, first 2 shown]
.LBB0_143:
	s_or_b32 exec_lo, exec_lo, s0
.LBB0_144:
	s_delay_alu instid0(SALU_CYCLE_1)
	s_or_b32 exec_lo, exec_lo, s1
                                        ; implicit-def: $vgpr14_vgpr15
.LBB0_145:
	s_and_not1_saveexec_b32 s1, s7
	s_cbranch_execz .LBB0_159
; %bb.146:
	s_mov_b64 s[8:9], 0x3fde03b0320c7c1b
	s_delay_alu instid0(SALU_CYCLE_1) | instskip(SKIP_1) | instid1(VALU_DEP_2)
	v_div_scale_f64 v[0:1], null, v[14:15], v[14:15], s[8:9]
	v_div_scale_f64 v[6:7], vcc_lo, s[8:9], v[14:15], s[8:9]
	v_rcp_f64_e32 v[2:3], v[0:1]
	v_nop
	s_delay_alu instid0(TRANS32_DEP_1) | instskip(NEXT) | instid1(VALU_DEP_1)
	v_fma_f64 v[4:5], -v[0:1], v[2:3], 1.0
	v_fmac_f64_e32 v[2:3], v[2:3], v[4:5]
	s_delay_alu instid0(VALU_DEP_1) | instskip(NEXT) | instid1(VALU_DEP_1)
	v_fma_f64 v[4:5], -v[0:1], v[2:3], 1.0
	v_fmac_f64_e32 v[2:3], v[2:3], v[4:5]
	s_delay_alu instid0(VALU_DEP_1) | instskip(NEXT) | instid1(VALU_DEP_1)
	v_mul_f64_e32 v[4:5], v[6:7], v[2:3]
	v_fma_f64 v[0:1], -v[0:1], v[4:5], v[6:7]
	s_delay_alu instid0(VALU_DEP_1) | instskip(NEXT) | instid1(VALU_DEP_1)
	v_div_fmas_f64 v[0:1], v[0:1], v[2:3], v[4:5]
	v_div_fixup_f64 v[0:1], v[0:1], v[14:15], s[8:9]
	s_mov_b64 s[8:9], 0x3fe921fb54442d15
	s_delay_alu instid0(VALU_DEP_1) | instskip(NEXT) | instid1(VALU_DEP_1)
	v_add_f64_e32 v[0:1], 0xbfe662c3500ec265, v[0:1]
	v_div_scale_f64 v[2:3], null, v[14:15], v[14:15], v[0:1]
	v_div_scale_f64 v[18:19], vcc_lo, v[0:1], v[14:15], v[0:1]
	s_delay_alu instid0(VALU_DEP_2) | instskip(SKIP_1) | instid1(TRANS32_DEP_1)
	v_rcp_f64_e32 v[4:5], v[2:3]
	v_nop
	v_fma_f64 v[6:7], -v[2:3], v[4:5], 1.0
	s_delay_alu instid0(VALU_DEP_1) | instskip(NEXT) | instid1(VALU_DEP_1)
	v_fmac_f64_e32 v[4:5], v[4:5], v[6:7]
	v_fma_f64 v[6:7], -v[2:3], v[4:5], 1.0
	s_delay_alu instid0(VALU_DEP_1) | instskip(NEXT) | instid1(VALU_DEP_1)
	v_fmac_f64_e32 v[4:5], v[4:5], v[6:7]
	v_mul_f64_e32 v[6:7], v[18:19], v[4:5]
	s_delay_alu instid0(VALU_DEP_1) | instskip(NEXT) | instid1(VALU_DEP_1)
	v_fma_f64 v[2:3], -v[2:3], v[6:7], v[18:19]
	v_div_fmas_f64 v[2:3], v[2:3], v[4:5], v[6:7]
	s_delay_alu instid0(VALU_DEP_1) | instskip(NEXT) | instid1(VALU_DEP_1)
	v_div_fixup_f64 v[0:1], v[2:3], v[14:15], v[0:1]
	v_add_f64_e32 v[0:1], 0x3fe12e39e0bf7fc2, v[0:1]
	s_delay_alu instid0(VALU_DEP_1) | instskip(SKIP_1) | instid1(VALU_DEP_2)
	v_div_scale_f64 v[2:3], null, v[14:15], v[14:15], v[0:1]
	v_div_scale_f64 v[18:19], vcc_lo, v[0:1], v[14:15], v[0:1]
	v_rcp_f64_e32 v[4:5], v[2:3]
	v_nop
	s_delay_alu instid0(TRANS32_DEP_1) | instskip(NEXT) | instid1(VALU_DEP_1)
	v_fma_f64 v[6:7], -v[2:3], v[4:5], 1.0
	v_fmac_f64_e32 v[4:5], v[4:5], v[6:7]
	s_delay_alu instid0(VALU_DEP_1) | instskip(NEXT) | instid1(VALU_DEP_1)
	v_fma_f64 v[6:7], -v[2:3], v[4:5], 1.0
	v_fmac_f64_e32 v[4:5], v[4:5], v[6:7]
	s_delay_alu instid0(VALU_DEP_1) | instskip(NEXT) | instid1(VALU_DEP_1)
	v_mul_f64_e32 v[6:7], v[18:19], v[4:5]
	v_fma_f64 v[2:3], -v[2:3], v[6:7], v[18:19]
	s_delay_alu instid0(VALU_DEP_1) | instskip(NEXT) | instid1(VALU_DEP_1)
	v_div_fmas_f64 v[2:3], v[2:3], v[4:5], v[6:7]
	v_div_fixup_f64 v[0:1], v[2:3], v[14:15], v[0:1]
	s_delay_alu instid0(VALU_DEP_1) | instskip(NEXT) | instid1(VALU_DEP_1)
	v_add_f64_e32 v[0:1], 0xbfd50b8e4299d9ed, v[0:1]
	v_div_scale_f64 v[2:3], null, v[14:15], v[14:15], v[0:1]
	v_div_scale_f64 v[18:19], vcc_lo, v[0:1], v[14:15], v[0:1]
	s_delay_alu instid0(VALU_DEP_2) | instskip(SKIP_1) | instid1(TRANS32_DEP_1)
	v_rcp_f64_e32 v[4:5], v[2:3]
	v_nop
	v_fma_f64 v[6:7], -v[2:3], v[4:5], 1.0
	s_delay_alu instid0(VALU_DEP_1) | instskip(NEXT) | instid1(VALU_DEP_1)
	v_fmac_f64_e32 v[4:5], v[4:5], v[6:7]
	v_fma_f64 v[6:7], -v[2:3], v[4:5], 1.0
	s_delay_alu instid0(VALU_DEP_1) | instskip(NEXT) | instid1(VALU_DEP_1)
	v_fmac_f64_e32 v[4:5], v[4:5], v[6:7]
	v_mul_f64_e32 v[6:7], v[18:19], v[4:5]
	s_delay_alu instid0(VALU_DEP_1) | instskip(NEXT) | instid1(VALU_DEP_1)
	v_fma_f64 v[2:3], -v[2:3], v[6:7], v[18:19]
	v_div_fmas_f64 v[2:3], v[2:3], v[4:5], v[6:7]
	s_delay_alu instid0(VALU_DEP_1) | instskip(NEXT) | instid1(VALU_DEP_1)
	v_div_fixup_f64 v[0:1], v[2:3], v[14:15], v[0:1]
	v_add_f64_e32 v[0:1], 0x3fcf8bde84950663, v[0:1]
	s_delay_alu instid0(VALU_DEP_1) | instskip(SKIP_1) | instid1(VALU_DEP_2)
	v_div_scale_f64 v[2:3], null, v[14:15], v[14:15], v[0:1]
	v_div_scale_f64 v[18:19], vcc_lo, v[0:1], v[14:15], v[0:1]
	v_rcp_f64_e32 v[4:5], v[2:3]
	v_nop
	s_delay_alu instid0(TRANS32_DEP_1) | instskip(NEXT) | instid1(VALU_DEP_1)
	v_fma_f64 v[6:7], -v[2:3], v[4:5], 1.0
	v_fmac_f64_e32 v[4:5], v[4:5], v[6:7]
	s_delay_alu instid0(VALU_DEP_1) | instskip(NEXT) | instid1(VALU_DEP_1)
	v_fma_f64 v[6:7], -v[2:3], v[4:5], 1.0
	v_fmac_f64_e32 v[4:5], v[4:5], v[6:7]
	s_delay_alu instid0(VALU_DEP_1) | instskip(NEXT) | instid1(VALU_DEP_1)
	v_mul_f64_e32 v[6:7], v[18:19], v[4:5]
	v_fma_f64 v[2:3], -v[2:3], v[6:7], v[18:19]
	s_delay_alu instid0(VALU_DEP_1) | instskip(SKIP_1) | instid1(VALU_DEP_2)
	v_div_fmas_f64 v[2:3], v[2:3], v[4:5], v[6:7]
	v_div_scale_f64 v[4:5], null, v[14:15], v[14:15], s[8:9]
	v_div_fixup_f64 v[0:1], v[2:3], v[14:15], v[0:1]
	s_delay_alu instid0(VALU_DEP_2) | instskip(NEXT) | instid1(VALU_DEP_1)
	v_rcp_f64_e32 v[18:19], v[4:5]
	v_add_f64_e32 v[0:1], 0xbfdffd63f7832524, v[0:1]
	s_delay_alu instid0(TRANS32_DEP_1) | instskip(NEXT) | instid1(VALU_DEP_2)
	v_fma_f64 v[34:35], -v[4:5], v[18:19], 1.0
	v_div_scale_f64 v[2:3], null, v[14:15], v[14:15], v[0:1]
	v_div_scale_f64 v[48:49], vcc_lo, v[0:1], v[14:15], v[0:1]
	s_delay_alu instid0(VALU_DEP_3) | instskip(NEXT) | instid1(VALU_DEP_3)
	v_fmac_f64_e32 v[18:19], v[18:19], v[34:35]
	v_rcp_f64_e32 v[6:7], v[2:3]
	s_delay_alu instid0(VALU_DEP_1) | instskip(NEXT) | instid1(TRANS32_DEP_1)
	v_fma_f64 v[34:35], -v[4:5], v[18:19], 1.0
	v_fma_f64 v[30:31], -v[2:3], v[6:7], 1.0
	s_delay_alu instid0(VALU_DEP_2) | instskip(NEXT) | instid1(VALU_DEP_2)
	v_fmac_f64_e32 v[18:19], v[18:19], v[34:35]
	v_fmac_f64_e32 v[6:7], v[6:7], v[30:31]
	s_delay_alu instid0(VALU_DEP_1) | instskip(NEXT) | instid1(VALU_DEP_1)
	v_fma_f64 v[30:31], -v[2:3], v[6:7], 1.0
	v_fmac_f64_e32 v[6:7], v[6:7], v[30:31]
	v_div_scale_f64 v[30:31], s0, s[8:9], v[14:15], s[8:9]
	s_delay_alu instid0(VALU_DEP_2) | instskip(NEXT) | instid1(VALU_DEP_2)
	v_mul_f64_e32 v[34:35], v[48:49], v[6:7]
	v_mul_f64_e32 v[50:51], v[30:31], v[18:19]
	s_delay_alu instid0(VALU_DEP_2) | instskip(NEXT) | instid1(VALU_DEP_2)
	v_fma_f64 v[2:3], -v[2:3], v[34:35], v[48:49]
	v_fma_f64 v[4:5], -v[4:5], v[50:51], v[30:31]
	s_delay_alu instid0(VALU_DEP_2) | instskip(SKIP_1) | instid1(VALU_DEP_2)
	v_div_fmas_f64 v[2:3], v[2:3], v[6:7], v[34:35]
	s_mov_b32 vcc_lo, s0
	v_div_fmas_f64 v[4:5], v[4:5], v[18:19], v[50:51]
	v_mul_f64_e32 v[18:19], 0xbff71547652b82fe, v[14:15]
	s_delay_alu instid0(VALU_DEP_3) | instskip(NEXT) | instid1(VALU_DEP_3)
	v_div_fixup_f64 v[0:1], v[2:3], v[14:15], v[0:1]
	v_div_fixup_f64 v[4:5], v[4:5], v[14:15], s[8:9]
	s_delay_alu instid0(VALU_DEP_3) | instskip(SKIP_1) | instid1(VALU_DEP_3)
	v_rndne_f64_e32 v[18:19], v[18:19]
	s_mov_b64 s[8:9], 0xbfe62e42fefa39ef
	v_add_f64_e32 v[0:1], 0xbeca6cce1eb6fd83, v[0:1]
	s_delay_alu instid0(VALU_DEP_3) | instskip(NEXT) | instid1(VALU_DEP_3)
	v_cmp_gt_f64_e32 vcc_lo, 0x10000000, v[4:5]
	v_fma_f64 v[48:49], v[18:19], s[8:9], -v[14:15]
	s_mov_b64 s[8:9], 0x3e5ade156a5dcb37
	v_cndmask_b32_e64 v6, 0, 0x100, vcc_lo
	v_cndmask_b32_e64 v2, 0, 0xffffff80, vcc_lo
	s_delay_alu instid0(VALU_DEP_3) | instskip(SKIP_1) | instid1(VALU_DEP_4)
	v_fmamk_f64 v[48:49], v[18:19], 0xbc7abc9e3b39803f, v[48:49]
	v_cvt_i32_f64_e32 v18, v[18:19]
	v_ldexp_f64 v[4:5], v[4:5], v6
	s_delay_alu instid0(VALU_DEP_3) | instskip(NEXT) | instid1(VALU_DEP_1)
	v_fmaak_f64 v[50:51], s[8:9], v[48:49], 0x3e928af3fca7ab0c
	v_fmaak_f64 v[50:51], v[48:49], v[50:51], 0x3ec71dee623fde64
	s_delay_alu instid0(VALU_DEP_1) | instskip(NEXT) | instid1(VALU_DEP_1)
	v_fmaak_f64 v[50:51], v[48:49], v[50:51], 0x3efa01997c89e6b0
	v_fmaak_f64 v[50:51], v[48:49], v[50:51], 0x3f2a01a014761f6e
	v_rsq_f64_e32 v[6:7], v[4:5]
	v_cmp_class_f64_e64 vcc_lo, v[4:5], 0x260
	s_delay_alu instid0(TRANS32_DEP_1) | instskip(SKIP_1) | instid1(VALU_DEP_1)
	v_mul_f64_e32 v[30:31], v[4:5], v[6:7]
	v_mul_f64_e32 v[6:7], 0.5, v[6:7]
	v_fma_f64 v[34:35], -v[6:7], v[30:31], 0.5
	s_delay_alu instid0(VALU_DEP_1) | instskip(SKIP_1) | instid1(VALU_DEP_2)
	v_fmac_f64_e32 v[30:31], v[30:31], v[34:35]
	v_fmac_f64_e32 v[6:7], v[6:7], v[34:35]
	v_fma_f64 v[34:35], -v[30:31], v[30:31], v[4:5]
	s_delay_alu instid0(VALU_DEP_1) | instskip(SKIP_1) | instid1(VALU_DEP_1)
	v_fmac_f64_e32 v[30:31], v[34:35], v[6:7]
	v_fmaak_f64 v[34:35], v[48:49], v[50:51], 0x3f56c16c1852b7b0
	v_fmaak_f64 v[34:35], v[48:49], v[34:35], 0x3f81111111122322
	s_delay_alu instid0(VALU_DEP_1) | instskip(NEXT) | instid1(VALU_DEP_1)
	v_fmaak_f64 v[34:35], v[48:49], v[34:35], 0x3fa55555555502a1
	v_fmaak_f64 v[34:35], v[48:49], v[34:35], 0x3fc5555555555511
	s_delay_alu instid0(VALU_DEP_1) | instskip(SKIP_1) | instid1(VALU_DEP_2)
	v_fmaak_f64 v[34:35], v[48:49], v[34:35], 0x3fe000000000000b
	v_fma_f64 v[50:51], -v[30:31], v[30:31], v[4:5]
	v_fma_f64 v[34:35], v[48:49], v[34:35], 1.0
	s_delay_alu instid0(VALU_DEP_2) | instskip(NEXT) | instid1(VALU_DEP_2)
	v_fmac_f64_e32 v[30:31], v[50:51], v[6:7]
	v_fma_f64 v[6:7], v[48:49], v[34:35], 1.0
	v_add_f64_e32 v[48:49], v[14:15], v[14:15]
	s_delay_alu instid0(VALU_DEP_3) | instskip(NEXT) | instid1(VALU_DEP_3)
	v_ldexp_f64 v[2:3], v[30:31], v2
	v_ldexp_f64 v[50:51], v[6:7], v18
	s_delay_alu instid0(VALU_DEP_2) | instskip(NEXT) | instid1(VALU_DEP_1)
	v_dual_cndmask_b32 v5, v3, v5 :: v_dual_cndmask_b32 v4, v2, v4
	v_fmac_f64_e32 v[4:5], v[0:1], v[50:51]
	s_delay_alu instid0(VALU_DEP_1) | instskip(NEXT) | instid1(VALU_DEP_1)
	v_add_f64_e64 v[0:1], v[4:5], -v[50:51]
	v_div_scale_f64 v[2:3], null, v[48:49], v[48:49], v[0:1]
	s_delay_alu instid0(VALU_DEP_1) | instskip(SKIP_1) | instid1(TRANS32_DEP_1)
	v_rcp_f64_e32 v[6:7], v[2:3]
	v_nop
	v_fma_f64 v[18:19], -v[2:3], v[6:7], 1.0
	s_delay_alu instid0(VALU_DEP_1) | instskip(NEXT) | instid1(VALU_DEP_1)
	v_fmac_f64_e32 v[6:7], v[6:7], v[18:19]
	v_fma_f64 v[18:19], -v[2:3], v[6:7], 1.0
	s_delay_alu instid0(VALU_DEP_1) | instskip(SKIP_1) | instid1(VALU_DEP_1)
	v_fmac_f64_e32 v[6:7], v[6:7], v[18:19]
	v_div_scale_f64 v[18:19], vcc_lo, v[0:1], v[48:49], v[0:1]
	v_mul_f64_e32 v[30:31], v[18:19], v[6:7]
	s_delay_alu instid0(VALU_DEP_1) | instskip(NEXT) | instid1(VALU_DEP_1)
	v_fma_f64 v[2:3], -v[2:3], v[30:31], v[18:19]
                                        ; implicit-def: $vgpr18_vgpr19
	v_div_fmas_f64 v[2:3], v[2:3], v[6:7], v[30:31]
                                        ; implicit-def: $vgpr30_vgpr31
                                        ; implicit-def: $vgpr6_vgpr7
	s_delay_alu instid0(VALU_DEP_1)
	v_div_fixup_f64 v[34:35], v[2:3], v[48:49], v[0:1]
	scratch_load_b32 v0, off, s33 offset:744 ; 4-byte Folded Reload
                                        ; implicit-def: $vgpr2_vgpr3
	s_wait_loadcnt 0x0
	v_cmp_lt_i32_e32 vcc_lo, 0, v0
                                        ; implicit-def: $vgpr0_vgpr1
	s_wait_xcnt 0x0
	s_and_saveexec_b32 s0, vcc_lo
	s_delay_alu instid0(SALU_CYCLE_1)
	s_xor_b32 s0, exec_lo, s0
	s_cbranch_execz .LBB0_154
; %bb.147:
	scratch_load_b32 v0, off, s33 offset:744 ; 4-byte Folded Reload
                                        ; implicit-def: $vgpr18_vgpr19
                                        ; implicit-def: $vgpr30_vgpr31
                                        ; implicit-def: $vgpr6_vgpr7
                                        ; implicit-def: $vgpr2_vgpr3
	s_wait_loadcnt 0x0
	v_cmp_lt_i32_e32 vcc_lo, 1, v0
                                        ; implicit-def: $vgpr0_vgpr1
	s_wait_xcnt 0x0
	s_and_saveexec_b32 s7, vcc_lo
	s_delay_alu instid0(SALU_CYCLE_1)
	s_xor_b32 s7, exec_lo, s7
	s_cbranch_execz .LBB0_151
; %bb.148:
	scratch_load_b32 v52, off, s33 offset:744 ; 4-byte Folded Reload
	v_mov_b64_e32 v[18:19], 0
	v_mov_b64_e32 v[30:31], 0
	;; [unrolled: 1-line block ×5, first 2 shown]
	s_mov_b32 s8, exec_lo
	s_wait_loadcnt 0x0
	v_cmpx_eq_u32_e32 2, v52
	s_cbranch_execz .LBB0_150
; %bb.149:
	v_fma_f64 v[0:1], 2.0, v[34:35], v[34:35]
	s_mov_b64 s[10:11], 0x3cc4b22d136ccd62
	s_delay_alu instid0(VALU_DEP_1) | instskip(NEXT) | instid1(VALU_DEP_1)
	v_add_f64_e64 v[0:1], v[0:1], -v[50:51]
	v_div_scale_f64 v[2:3], null, v[48:49], v[48:49], v[0:1]
	s_delay_alu instid0(VALU_DEP_1) | instskip(SKIP_1) | instid1(TRANS32_DEP_1)
	v_rcp_f64_e32 v[6:7], v[2:3]
	v_nop
	v_fma_f64 v[18:19], -v[2:3], v[6:7], 1.0
	s_delay_alu instid0(VALU_DEP_1) | instskip(NEXT) | instid1(VALU_DEP_1)
	v_fmac_f64_e32 v[6:7], v[6:7], v[18:19]
	v_fma_f64 v[18:19], -v[2:3], v[6:7], 1.0
	s_delay_alu instid0(VALU_DEP_1) | instskip(SKIP_1) | instid1(VALU_DEP_1)
	v_fmac_f64_e32 v[6:7], v[6:7], v[18:19]
	v_div_scale_f64 v[18:19], vcc_lo, v[0:1], v[48:49], v[0:1]
	v_mul_f64_e32 v[30:31], v[18:19], v[6:7]
	s_delay_alu instid0(VALU_DEP_1) | instskip(NEXT) | instid1(VALU_DEP_1)
	v_fma_f64 v[2:3], -v[2:3], v[30:31], v[18:19]
	v_div_fmas_f64 v[2:3], v[2:3], v[6:7], v[30:31]
	v_add_f64_e32 v[6:7], 0xc01e0000, v[14:15]
	s_delay_alu instid0(VALU_DEP_2) | instskip(NEXT) | instid1(VALU_DEP_2)
	v_div_fixup_f64 v[18:19], v[2:3], v[48:49], v[0:1]
	v_fmaak_f64 v[0:1], s[10:11], v[6:7], 0x3cc9a5f90d44f4e0
	s_mov_b64 s[10:11], 0x3d098cc283f527a3
	s_delay_alu instid0(SALU_CYCLE_1) | instskip(SKIP_1) | instid1(SALU_CYCLE_1)
	v_fmaak_f64 v[2:3], s[10:11], v[6:7], 0x3cff7f3f96a2973a
	s_mov_b64 s[10:11], 0x3cfe025ed4a5627c
	v_fmaak_f64 v[14:15], s[10:11], v[6:7], 0x3d4a07baae0d0bf3
	s_delay_alu instid0(VALU_DEP_3) | instskip(NEXT) | instid1(VALU_DEP_3)
	v_fmaak_f64 v[0:1], v[6:7], v[0:1], 0xbd32f64e13514cb1
	v_fmaak_f64 v[2:3], v[6:7], v[2:3], 0xbd6e3e3e9914dc55
	s_delay_alu instid0(VALU_DEP_3) | instskip(NEXT) | instid1(VALU_DEP_3)
	v_fmaak_f64 v[14:15], v[6:7], v[14:15], 0xbd817623ef3b2539
	;; [unrolled: 3-line block ×16, first 2 shown]
	v_fmaak_f64 v[2:3], v[6:7], v[2:3], 0x3fd1a97bc1e010c6
	s_delay_alu instid0(VALU_DEP_3) | instskip(NEXT) | instid1(VALU_DEP_1)
	v_fmaak_f64 v[14:15], v[6:7], v[14:15], 0xbfd4a12331e4055b
	v_fmaak_f64 v[6:7], v[6:7], v[14:15], 0x3ffbc5f3e9f5dcdc
	s_delay_alu instid0(VALU_DEP_4) | instskip(NEXT) | instid1(VALU_DEP_1)
	v_add_f64_e32 v[14:15], 1.0, v[0:1]
	v_div_scale_f64 v[30:31], null, v[14:15], v[14:15], v[0:1]
	s_delay_alu instid0(VALU_DEP_1) | instskip(SKIP_1) | instid1(TRANS32_DEP_1)
	v_rcp_f64_e32 v[48:49], v[30:31]
	v_nop
	v_fma_f64 v[50:51], -v[30:31], v[48:49], 1.0
	s_delay_alu instid0(VALU_DEP_1) | instskip(NEXT) | instid1(VALU_DEP_1)
	v_fmac_f64_e32 v[48:49], v[48:49], v[50:51]
	v_fma_f64 v[50:51], -v[30:31], v[48:49], 1.0
	s_delay_alu instid0(VALU_DEP_1) | instskip(SKIP_1) | instid1(VALU_DEP_1)
	v_fmac_f64_e32 v[48:49], v[48:49], v[50:51]
	v_div_scale_f64 v[50:51], vcc_lo, v[0:1], v[14:15], v[0:1]
	v_mul_f64_e32 v[52:53], v[50:51], v[48:49]
	s_delay_alu instid0(VALU_DEP_1) | instskip(NEXT) | instid1(VALU_DEP_1)
	v_fma_f64 v[30:31], -v[30:31], v[52:53], v[50:51]
	v_div_fmas_f64 v[30:31], v[30:31], v[48:49], v[52:53]
	s_delay_alu instid0(VALU_DEP_1) | instskip(SKIP_1) | instid1(VALU_DEP_1)
	v_div_fixup_f64 v[14:15], v[30:31], v[14:15], v[0:1]
	v_add_f64_e32 v[30:31], 1.0, v[2:3]
	v_div_scale_f64 v[48:49], null, v[30:31], v[30:31], v[2:3]
	s_delay_alu instid0(VALU_DEP_1) | instskip(SKIP_1) | instid1(TRANS32_DEP_1)
	v_rcp_f64_e32 v[50:51], v[48:49]
	v_nop
	v_fma_f64 v[52:53], -v[48:49], v[50:51], 1.0
	s_delay_alu instid0(VALU_DEP_1) | instskip(NEXT) | instid1(VALU_DEP_1)
	v_fmac_f64_e32 v[50:51], v[50:51], v[52:53]
	v_fma_f64 v[52:53], -v[48:49], v[50:51], 1.0
	s_delay_alu instid0(VALU_DEP_1) | instskip(SKIP_1) | instid1(VALU_DEP_1)
	v_fmac_f64_e32 v[50:51], v[50:51], v[52:53]
	v_div_scale_f64 v[52:53], vcc_lo, v[2:3], v[30:31], v[2:3]
	v_mul_f64_e32 v[54:55], v[52:53], v[50:51]
	s_delay_alu instid0(VALU_DEP_1) | instskip(NEXT) | instid1(VALU_DEP_1)
	v_fma_f64 v[48:49], -v[48:49], v[54:55], v[52:53]
	v_div_fmas_f64 v[48:49], v[48:49], v[50:51], v[54:55]
	s_delay_alu instid0(VALU_DEP_1) | instskip(SKIP_1) | instid1(VALU_DEP_1)
	v_div_fixup_f64 v[30:31], v[48:49], v[30:31], v[2:3]
	v_add_f64_e32 v[48:49], 1.0, v[6:7]
	v_div_scale_f64 v[50:51], null, v[48:49], v[48:49], v[6:7]
	s_delay_alu instid0(VALU_DEP_1) | instskip(SKIP_1) | instid1(TRANS32_DEP_1)
	v_rcp_f64_e32 v[52:53], v[50:51]
	v_nop
	v_fma_f64 v[54:55], -v[50:51], v[52:53], 1.0
	s_delay_alu instid0(VALU_DEP_1) | instskip(NEXT) | instid1(VALU_DEP_1)
	v_fmac_f64_e32 v[52:53], v[52:53], v[54:55]
	v_fma_f64 v[54:55], -v[50:51], v[52:53], 1.0
	s_delay_alu instid0(VALU_DEP_1) | instskip(SKIP_1) | instid1(VALU_DEP_1)
	v_fmac_f64_e32 v[52:53], v[52:53], v[54:55]
	v_div_scale_f64 v[54:55], vcc_lo, v[6:7], v[48:49], v[6:7]
	v_mul_f64_e32 v[98:99], v[54:55], v[52:53]
	s_delay_alu instid0(VALU_DEP_1) | instskip(NEXT) | instid1(VALU_DEP_1)
	v_fma_f64 v[50:51], -v[50:51], v[98:99], v[54:55]
	v_div_fmas_f64 v[50:51], v[50:51], v[52:53], v[98:99]
	s_delay_alu instid0(VALU_DEP_1) | instskip(SKIP_2) | instid1(VALU_DEP_3)
	v_div_fixup_f64 v[48:49], v[50:51], v[48:49], v[6:7]
	v_fma_f64 v[50:51], -v[34:35], v[14:15], v[18:19]
	v_fma_f64 v[34:35], -v[4:5], v[14:15], v[34:35]
	v_add_f64_e64 v[52:53], v[48:49], -v[30:31]
	v_add_f64_e64 v[54:55], v[48:49], -v[14:15]
	s_delay_alu instid0(VALU_DEP_3) | instskip(SKIP_2) | instid1(VALU_DEP_4)
	v_fma_f64 v[18:19], -v[30:31], v[34:35], v[50:51]
	v_add_f64_e64 v[14:15], v[30:31], -v[14:15]
	v_fma_f64 v[34:35], v[48:49], v[34:35], -v[50:51]
	v_mul_f64_e32 v[54:55], v[52:53], v[54:55]
	s_delay_alu instid0(VALU_DEP_3) | instskip(NEXT) | instid1(VALU_DEP_2)
	v_mul_f64_e32 v[14:15], v[14:15], v[52:53]
	v_div_scale_f64 v[98:99], null, v[54:55], v[54:55], v[18:19]
	s_delay_alu instid0(VALU_DEP_2) | instskip(NEXT) | instid1(VALU_DEP_2)
	v_div_scale_f64 v[30:31], null, v[14:15], v[14:15], v[34:35]
	v_rcp_f64_e32 v[100:101], v[98:99]
	s_delay_alu instid0(VALU_DEP_1) | instskip(NEXT) | instid1(TRANS32_DEP_2)
	v_rcp_f64_e32 v[48:49], v[30:31]
	v_fma_f64 v[102:103], -v[98:99], v[100:101], 1.0
	s_delay_alu instid0(TRANS32_DEP_1) | instskip(NEXT) | instid1(VALU_DEP_2)
	v_fma_f64 v[50:51], -v[30:31], v[48:49], 1.0
	v_fmac_f64_e32 v[100:101], v[100:101], v[102:103]
	s_delay_alu instid0(VALU_DEP_2) | instskip(NEXT) | instid1(VALU_DEP_2)
	v_fmac_f64_e32 v[48:49], v[48:49], v[50:51]
	v_fma_f64 v[102:103], -v[98:99], v[100:101], 1.0
	s_delay_alu instid0(VALU_DEP_2) | instskip(NEXT) | instid1(VALU_DEP_2)
	v_fma_f64 v[50:51], -v[30:31], v[48:49], 1.0
	v_fmac_f64_e32 v[100:101], v[100:101], v[102:103]
	v_div_scale_f64 v[102:103], vcc_lo, v[18:19], v[54:55], v[18:19]
	s_delay_alu instid0(VALU_DEP_3) | instskip(NEXT) | instid1(VALU_DEP_2)
	v_fmac_f64_e32 v[48:49], v[48:49], v[50:51]
	v_mul_f64_e32 v[112:113], v[102:103], v[100:101]
	s_delay_alu instid0(VALU_DEP_1) | instskip(NEXT) | instid1(VALU_DEP_1)
	v_fma_f64 v[98:99], -v[98:99], v[112:113], v[102:103]
	v_div_fmas_f64 v[98:99], v[98:99], v[100:101], v[112:113]
	v_div_scale_f64 v[50:51], vcc_lo, v[34:35], v[14:15], v[34:35]
	s_delay_alu instid0(VALU_DEP_2) | instskip(NEXT) | instid1(VALU_DEP_2)
	v_div_fixup_f64 v[18:19], v[98:99], v[54:55], v[18:19]
	v_mul_f64_e32 v[52:53], v[50:51], v[48:49]
	s_delay_alu instid0(VALU_DEP_1) | instskip(NEXT) | instid1(VALU_DEP_1)
	v_fma_f64 v[30:31], -v[30:31], v[52:53], v[50:51]
	v_div_fmas_f64 v[30:31], v[30:31], v[48:49], v[52:53]
	s_delay_alu instid0(VALU_DEP_1) | instskip(NEXT) | instid1(VALU_DEP_1)
	v_div_fixup_f64 v[30:31], v[30:31], v[14:15], v[34:35]
	v_add_f64_e64 v[4:5], v[4:5], -v[30:31]
	s_delay_alu instid0(VALU_DEP_1)
	v_add_f64_e64 v[4:5], v[4:5], -v[18:19]
.LBB0_150:
	s_or_b32 exec_lo, exec_lo, s8
                                        ; implicit-def: $vgpr14_vgpr15
                                        ; implicit-def: $vgpr34_vgpr35
.LBB0_151:
	s_and_not1_saveexec_b32 s7, s7
	s_cbranch_execz .LBB0_153
; %bb.152:
	v_add_f64_e32 v[0:1], 0xc01e0000, v[14:15]
	s_mov_b64 s[8:9], 0xbca4b31cc8096513
	s_delay_alu instid0(VALU_DEP_2) | instskip(NEXT) | instid1(VALU_DEP_2)
	v_add_f64_e64 v[14:15], v[34:35], -v[4:5]
	v_fmaak_f64 v[2:3], s[8:9], v[0:1], 0x3cb129fe9bb322b7
	s_mov_b64 s[8:9], 0x3d1c02ee284a2a61
	s_delay_alu instid0(SALU_CYCLE_1) | instskip(NEXT) | instid1(VALU_DEP_2)
	v_fmaak_f64 v[6:7], s[8:9], v[0:1], 0xbd4328018b28e7d9
	v_fmaak_f64 v[2:3], v[0:1], v[2:3], 0x3d0e962df344837f
	s_delay_alu instid0(VALU_DEP_2) | instskip(NEXT) | instid1(VALU_DEP_2)
	v_fmaak_f64 v[6:7], v[0:1], v[6:7], 0xbd8390c173e17dd6
	v_fmaak_f64 v[2:3], v[0:1], v[2:3], 0xbd33e286704323a2
	s_delay_alu instid0(VALU_DEP_2) | instskip(NEXT) | instid1(VALU_DEP_2)
	;; [unrolled: 3-line block ×13, first 2 shown]
	v_add_f64_e32 v[6:7], 1.0, v[2:3]
	v_fmac_f64_e32 v[34:35], v[14:15], v[0:1]
	v_add_f64_e64 v[14:15], v[2:3], -v[0:1]
	s_delay_alu instid0(VALU_DEP_2) | instskip(NEXT) | instid1(VALU_DEP_1)
	v_mul_f64_e32 v[6:7], v[6:7], v[34:35]
	v_div_scale_f64 v[18:19], null, v[14:15], v[14:15], v[6:7]
	s_delay_alu instid0(VALU_DEP_1) | instskip(SKIP_1) | instid1(TRANS32_DEP_1)
	v_rcp_f64_e32 v[30:31], v[18:19]
	v_nop
	v_fma_f64 v[34:35], -v[18:19], v[30:31], 1.0
	s_delay_alu instid0(VALU_DEP_1) | instskip(NEXT) | instid1(VALU_DEP_1)
	v_fmac_f64_e32 v[30:31], v[30:31], v[34:35]
	v_fma_f64 v[34:35], -v[18:19], v[30:31], 1.0
	s_delay_alu instid0(VALU_DEP_1) | instskip(SKIP_1) | instid1(VALU_DEP_1)
	v_fmac_f64_e32 v[30:31], v[30:31], v[34:35]
	v_div_scale_f64 v[34:35], vcc_lo, v[6:7], v[14:15], v[6:7]
	v_mul_f64_e32 v[48:49], v[34:35], v[30:31]
	s_delay_alu instid0(VALU_DEP_1) | instskip(NEXT) | instid1(VALU_DEP_1)
	v_fma_f64 v[18:19], -v[18:19], v[48:49], v[34:35]
	v_div_fmas_f64 v[18:19], v[18:19], v[30:31], v[48:49]
	s_delay_alu instid0(VALU_DEP_1) | instskip(SKIP_2) | instid1(VALU_DEP_3)
	v_div_fixup_f64 v[30:31], v[18:19], v[14:15], v[6:7]
	v_mov_b64_e32 v[18:19], 0
	v_mov_b64_e32 v[6:7], 0
	v_add_f64_e64 v[4:5], v[4:5], -v[30:31]
.LBB0_153:
	s_or_b32 exec_lo, exec_lo, s7
                                        ; implicit-def: $vgpr34_vgpr35
.LBB0_154:
	s_and_not1_saveexec_b32 s0, s0
	s_cbranch_execz .LBB0_158
; %bb.155:
	scratch_load_b32 v2, off, s33 offset:744 ; 4-byte Folded Reload
	v_mov_b64_e32 v[18:19], 0
	v_mov_b64_e32 v[0:1], 0
	s_mov_b32 s7, exec_lo
	s_wait_loadcnt 0x0
	v_cmpx_eq_u32_e32 0, v2
	s_cbranch_execz .LBB0_157
; %bb.156:
	v_add_f64_e64 v[0:1], v[4:5], -v[34:35]
	s_delay_alu instid0(VALU_DEP_1) | instskip(NEXT) | instid1(VALU_DEP_1)
	v_div_scale_f64 v[2:3], null, v[0:1], v[0:1], v[34:35]
	v_rcp_f64_e32 v[6:7], v[2:3]
	v_nop
	s_delay_alu instid0(TRANS32_DEP_1) | instskip(NEXT) | instid1(VALU_DEP_1)
	v_fma_f64 v[14:15], -v[2:3], v[6:7], 1.0
	v_fmac_f64_e32 v[6:7], v[6:7], v[14:15]
	s_delay_alu instid0(VALU_DEP_1) | instskip(NEXT) | instid1(VALU_DEP_1)
	v_fma_f64 v[14:15], -v[2:3], v[6:7], 1.0
	v_fmac_f64_e32 v[6:7], v[6:7], v[14:15]
	v_div_scale_f64 v[14:15], vcc_lo, v[34:35], v[0:1], v[34:35]
	s_delay_alu instid0(VALU_DEP_1) | instskip(NEXT) | instid1(VALU_DEP_1)
	v_mul_f64_e32 v[30:31], v[14:15], v[6:7]
	v_fma_f64 v[2:3], -v[2:3], v[30:31], v[14:15]
	s_delay_alu instid0(VALU_DEP_1) | instskip(NEXT) | instid1(VALU_DEP_1)
	v_div_fmas_f64 v[2:3], v[2:3], v[6:7], v[30:31]
	v_div_fixup_f64 v[0:1], v[2:3], v[0:1], v[34:35]
.LBB0_157:
	s_or_b32 exec_lo, exec_lo, s7
	v_mov_b64_e32 v[30:31], 0
	v_mov_b64_e32 v[6:7], 0
	;; [unrolled: 1-line block ×3, first 2 shown]
.LBB0_158:
	s_or_b32 exec_lo, exec_lo, s0
.LBB0_159:
	s_delay_alu instid0(SALU_CYCLE_1)
	s_or_b32 exec_lo, exec_lo, s1
                                        ; implicit-def: $vgpr14_vgpr15
.LBB0_160:
	s_and_not1_saveexec_b32 s0, s6
	s_cbranch_execz .LBB0_298
; %bb.161:
	scratch_load_b32 v0, off, s33 offset:744 ; 4-byte Folded Reload
	v_add_f64_e32 v[34:35], -4.0, v[14:15]
                                        ; implicit-def: $vgpr18_vgpr19
                                        ; implicit-def: $vgpr30_vgpr31
                                        ; implicit-def: $vgpr4_vgpr5
                                        ; implicit-def: $vgpr6_vgpr7
                                        ; implicit-def: $vgpr2_vgpr3
	s_wait_loadcnt 0x0
	v_cmp_lt_i32_e32 vcc_lo, 0, v0
                                        ; implicit-def: $vgpr0_vgpr1
	s_wait_xcnt 0x0
	s_and_saveexec_b32 s1, vcc_lo
	s_delay_alu instid0(SALU_CYCLE_1)
	s_xor_b32 s1, exec_lo, s1
	s_cbranch_execz .LBB0_169
; %bb.162:
	scratch_load_b32 v0, off, s33 offset:744 ; 4-byte Folded Reload
                                        ; implicit-def: $vgpr18_vgpr19
                                        ; implicit-def: $vgpr30_vgpr31
                                        ; implicit-def: $vgpr4_vgpr5
                                        ; implicit-def: $vgpr6_vgpr7
                                        ; implicit-def: $vgpr2_vgpr3
	s_wait_loadcnt 0x0
	v_cmp_lt_i32_e32 vcc_lo, 1, v0
                                        ; implicit-def: $vgpr0_vgpr1
	s_wait_xcnt 0x0
	s_and_saveexec_b32 s6, vcc_lo
	s_delay_alu instid0(SALU_CYCLE_1)
	s_xor_b32 s6, exec_lo, s6
	s_cbranch_execz .LBB0_166
; %bb.163:
	scratch_load_b32 v48, off, s33 offset:744 ; 4-byte Folded Reload
	v_mov_b64_e32 v[18:19], 0
	v_mov_b64_e32 v[30:31], 0
	;; [unrolled: 1-line block ×6, first 2 shown]
	s_mov_b32 s7, exec_lo
	s_wait_loadcnt 0x0
	v_cmpx_eq_u32_e32 2, v48
	s_cbranch_execz .LBB0_165
; %bb.164:
	s_mov_b64 s[8:9], 0x3dafb96ffb34e0d3
	v_mul_f64_e32 v[18:19], 0xbff71547652b82fe, v[14:15]
	v_fmaak_f64 v[0:1], s[8:9], v[34:35], 0xbe00087368302304
	s_mov_b64 s[8:9], 0xbdbd31e4c0ebc727
	v_cmp_nlt_f64_e32 vcc_lo, 0x4090cc00, v[14:15]
	v_fmaak_f64 v[2:3], s[8:9], v[34:35], 0x3deb26a394184e10
	s_mov_b64 s[8:9], 0xbdfafecdeec8a0c9
	s_delay_alu instid0(SALU_CYCLE_1) | instskip(SKIP_2) | instid1(VALU_DEP_3)
	v_fmaak_f64 v[4:5], s[8:9], v[34:35], 0xbe31e29f306569a3
	s_mov_b64 s[8:9], 0xbdba0902ecc42bc2
	v_fmaak_f64 v[0:1], v[34:35], v[0:1], 0x3e406d2afad6a4de
	v_fmaak_f64 v[2:3], v[34:35], v[2:3], 0x3e228d4162360679
	s_delay_alu instid0(VALU_DEP_3) | instskip(NEXT) | instid1(VALU_DEP_3)
	v_fmaak_f64 v[4:5], v[34:35], v[4:5], 0x3e67c07a8008685d
	v_fmaak_f64 v[0:1], v[34:35], v[0:1], 0xbe80820aae32011a
	s_delay_alu instid0(VALU_DEP_3) | instskip(NEXT) | instid1(VALU_DEP_3)
	;; [unrolled: 3-line block ×4, first 2 shown]
	v_fmaak_f64 v[4:5], v[34:35], v[4:5], 0xbec9a0d47dff9dc9
	v_fmaak_f64 v[0:1], v[34:35], v[0:1], 0xbefe1967735238d8
	v_rndne_f64_e32 v[18:19], v[18:19]
	s_delay_alu instid0(VALU_DEP_4) | instskip(NEXT) | instid1(VALU_DEP_4)
	v_fmaak_f64 v[2:3], v[34:35], v[2:3], 0x3ee7719c6e3cb6b6
	v_fmaak_f64 v[4:5], v[34:35], v[4:5], 0xbf1b9a532016f87c
	s_delay_alu instid0(VALU_DEP_4) | instskip(NEXT) | instid1(VALU_DEP_3)
	v_fmaak_f64 v[0:1], v[34:35], v[0:1], 0x3f38450e1683fb1e
	v_fmaak_f64 v[2:3], v[34:35], v[2:3], 0xbf35df376eda89a4
	s_delay_alu instid0(VALU_DEP_3) | instskip(NEXT) | instid1(VALU_DEP_3)
	v_fmaak_f64 v[4:5], v[34:35], v[4:5], 0xbf441f9ebd4fd1c4
	v_fmaak_f64 v[0:1], v[34:35], v[0:1], 0xbf713e924e40d91f
	s_delay_alu instid0(VALU_DEP_3) | instskip(NEXT) | instid1(VALU_DEP_3)
	;; [unrolled: 3-line block ×3, first 2 shown]
	v_fmaak_f64 v[0:1], v[34:35], v[0:1], 0x3fa1f74be333147e
	v_fmaak_f64 v[2:3], v[34:35], v[2:3], 0xbfae62e764ba8ada
	s_delay_alu instid0(VALU_DEP_3) | instskip(NEXT) | instid1(VALU_DEP_2)
	v_fmaak_f64 v[4:5], v[34:35], v[4:5], 0xbfe3fbe40759fda0
	v_fmaak_f64 v[2:3], v[34:35], v[2:3], 0x3fdb98763184cb0f
	s_delay_alu instid0(VALU_DEP_2) | instskip(SKIP_2) | instid1(SALU_CYCLE_1)
	v_fmaak_f64 v[6:7], v[34:35], v[4:5], 0x400ae9b96234aecc
	v_fmaak_f64 v[4:5], s[8:9], v[34:35], 0x3df3debc779ccc18
	s_mov_b64 s[8:9], 0xbfe62e42fefa39ef
	v_fma_f64 v[30:31], v[18:19], s[8:9], -v[14:15]
	s_mov_b64 s[8:9], 0x3e5ade156a5dcb37
	s_delay_alu instid0(VALU_DEP_2) | instskip(NEXT) | instid1(VALU_DEP_1)
	v_fmaak_f64 v[4:5], v[34:35], v[4:5], 0xbe2b53578a6f9cbe
	v_fmaak_f64 v[4:5], v[34:35], v[4:5], 0x3e617765292b0b5e
	s_delay_alu instid0(VALU_DEP_1) | instskip(NEXT) | instid1(VALU_DEP_1)
	v_fmaak_f64 v[4:5], v[34:35], v[4:5], 0xbe9430f90f90ee24
	v_fmaak_f64 v[4:5], v[34:35], v[4:5], 0x3ec4ddd8f951d32b
	v_fmamk_f64 v[30:31], v[18:19], 0xbc7abc9e3b39803f, v[30:31]
	s_delay_alu instid0(VALU_DEP_2) | instskip(SKIP_1) | instid1(VALU_DEP_2)
	v_fmaak_f64 v[4:5], v[34:35], v[4:5], 0xbef304298fde1fa3
	v_cvt_i32_f64_e32 v18, v[18:19]
	v_fmaak_f64 v[4:5], v[34:35], v[4:5], 0x3f1e044c0a4c1501
	s_delay_alu instid0(VALU_DEP_1) | instskip(NEXT) | instid1(VALU_DEP_1)
	v_fmaak_f64 v[4:5], v[34:35], v[4:5], 0xbf440235b3888cc2
	v_fmaak_f64 v[4:5], v[34:35], v[4:5], 0x3f65acbbad15a29c
	s_delay_alu instid0(VALU_DEP_1) | instskip(NEXT) | instid1(VALU_DEP_1)
	v_fmaak_f64 v[4:5], v[34:35], v[4:5], 0xbf81be83bc1496ff
	v_fmaak_f64 v[4:5], v[34:35], v[4:5], 0x3f91f24754e3eb24
	;; [unrolled: 1-line block ×3, first 2 shown]
	s_delay_alu instid0(VALU_DEP_1) | instskip(NEXT) | instid1(VALU_DEP_1)
	v_fmaak_f64 v[34:35], v[30:31], v[34:35], 0x3ec71dee623fde64
	v_fmaak_f64 v[34:35], v[30:31], v[34:35], 0x3efa01997c89e6b0
	s_delay_alu instid0(VALU_DEP_1) | instskip(NEXT) | instid1(VALU_DEP_1)
	v_fmaak_f64 v[34:35], v[30:31], v[34:35], 0x3f2a01a014761f6e
	v_fmaak_f64 v[34:35], v[30:31], v[34:35], 0x3f56c16c1852b7b0
	;; [unrolled: 3-line block ×4, first 2 shown]
	s_delay_alu instid0(VALU_DEP_1) | instskip(NEXT) | instid1(VALU_DEP_1)
	v_fma_f64 v[34:35], v[30:31], v[34:35], 1.0
	v_fma_f64 v[30:31], v[30:31], v[34:35], 1.0
	s_delay_alu instid0(VALU_DEP_1) | instskip(NEXT) | instid1(VALU_DEP_1)
	v_ldexp_f64 v[18:19], v[30:31], v18
	v_dual_cndmask_b32 v35, 0, v19 :: v_dual_cndmask_b32 v34, 0, v18
	v_add_f64_e32 v[18:19], v[14:15], v[14:15]
	s_delay_alu instid0(VALU_DEP_1) | instskip(NEXT) | instid1(VALU_DEP_1)
	v_fma_f64 v[14:15], v[18:19], v[4:5], v[34:35]
	v_div_scale_f64 v[30:31], null, 0x40080000, 0x40080000, v[14:15]
	s_delay_alu instid0(VALU_DEP_1) | instskip(SKIP_1) | instid1(TRANS32_DEP_1)
	v_rcp_f64_e32 v[48:49], v[30:31]
	v_nop
	v_fma_f64 v[50:51], -v[30:31], v[48:49], 1.0
	s_delay_alu instid0(VALU_DEP_1) | instskip(NEXT) | instid1(VALU_DEP_1)
	v_fmac_f64_e32 v[48:49], v[48:49], v[50:51]
	v_fma_f64 v[50:51], -v[30:31], v[48:49], 1.0
	s_delay_alu instid0(VALU_DEP_1) | instskip(SKIP_1) | instid1(VALU_DEP_1)
	v_fmac_f64_e32 v[48:49], v[48:49], v[50:51]
	v_div_scale_f64 v[50:51], vcc_lo, v[14:15], 0x40080000, v[14:15]
	v_mul_f64_e32 v[52:53], v[50:51], v[48:49]
	s_delay_alu instid0(VALU_DEP_1) | instskip(NEXT) | instid1(VALU_DEP_1)
	v_fma_f64 v[30:31], -v[30:31], v[52:53], v[50:51]
	v_div_fmas_f64 v[30:31], v[30:31], v[48:49], v[52:53]
	s_delay_alu instid0(VALU_DEP_1) | instskip(NEXT) | instid1(VALU_DEP_1)
	v_div_fixup_f64 v[14:15], v[30:31], 0x40080000, v[14:15]
	v_fmac_f64_e32 v[34:35], v[18:19], v[14:15]
	v_add_f64_e32 v[18:19], 1.0, v[0:1]
	s_delay_alu instid0(VALU_DEP_1) | instskip(NEXT) | instid1(VALU_DEP_1)
	v_div_scale_f64 v[30:31], null, v[18:19], v[18:19], v[0:1]
	v_rcp_f64_e32 v[48:49], v[30:31]
	v_nop
	s_delay_alu instid0(TRANS32_DEP_1) | instskip(NEXT) | instid1(VALU_DEP_1)
	v_fma_f64 v[50:51], -v[30:31], v[48:49], 1.0
	v_fmac_f64_e32 v[48:49], v[48:49], v[50:51]
	s_delay_alu instid0(VALU_DEP_1) | instskip(NEXT) | instid1(VALU_DEP_1)
	v_fma_f64 v[50:51], -v[30:31], v[48:49], 1.0
	v_fmac_f64_e32 v[48:49], v[48:49], v[50:51]
	v_div_scale_f64 v[50:51], vcc_lo, v[0:1], v[18:19], v[0:1]
	s_delay_alu instid0(VALU_DEP_1) | instskip(NEXT) | instid1(VALU_DEP_1)
	v_mul_f64_e32 v[52:53], v[50:51], v[48:49]
	v_fma_f64 v[30:31], -v[30:31], v[52:53], v[50:51]
	s_delay_alu instid0(VALU_DEP_1) | instskip(NEXT) | instid1(VALU_DEP_1)
	v_div_fmas_f64 v[30:31], v[30:31], v[48:49], v[52:53]
	v_div_fixup_f64 v[30:31], v[30:31], v[18:19], v[0:1]
	v_add_f64_e32 v[18:19], 1.0, v[2:3]
	s_delay_alu instid0(VALU_DEP_2) | instskip(NEXT) | instid1(VALU_DEP_2)
	v_fma_f64 v[4:5], -v[30:31], v[14:15], v[4:5]
	v_div_scale_f64 v[48:49], null, v[18:19], v[18:19], v[2:3]
	v_fma_f64 v[14:15], -v[30:31], v[34:35], v[14:15]
	s_delay_alu instid0(VALU_DEP_2) | instskip(SKIP_1) | instid1(TRANS32_DEP_1)
	v_rcp_f64_e32 v[50:51], v[48:49]
	v_nop
	v_fma_f64 v[52:53], -v[48:49], v[50:51], 1.0
	s_delay_alu instid0(VALU_DEP_1) | instskip(NEXT) | instid1(VALU_DEP_1)
	v_fmac_f64_e32 v[50:51], v[50:51], v[52:53]
	v_fma_f64 v[52:53], -v[48:49], v[50:51], 1.0
	s_delay_alu instid0(VALU_DEP_1) | instskip(SKIP_1) | instid1(VALU_DEP_1)
	v_fmac_f64_e32 v[50:51], v[50:51], v[52:53]
	v_div_scale_f64 v[52:53], vcc_lo, v[2:3], v[18:19], v[2:3]
	v_mul_f64_e32 v[54:55], v[52:53], v[50:51]
	s_delay_alu instid0(VALU_DEP_1) | instskip(NEXT) | instid1(VALU_DEP_1)
	v_fma_f64 v[48:49], -v[48:49], v[54:55], v[52:53]
	v_div_fmas_f64 v[48:49], v[48:49], v[50:51], v[54:55]
	s_delay_alu instid0(VALU_DEP_1) | instskip(SKIP_1) | instid1(VALU_DEP_1)
	v_div_fixup_f64 v[48:49], v[48:49], v[18:19], v[2:3]
	v_add_f64_e32 v[18:19], 1.0, v[6:7]
	v_div_scale_f64 v[50:51], null, v[18:19], v[18:19], v[6:7]
	s_delay_alu instid0(VALU_DEP_1) | instskip(SKIP_1) | instid1(TRANS32_DEP_1)
	v_rcp_f64_e32 v[52:53], v[50:51]
	v_nop
	v_fma_f64 v[54:55], -v[50:51], v[52:53], 1.0
	s_delay_alu instid0(VALU_DEP_1) | instskip(NEXT) | instid1(VALU_DEP_1)
	v_fmac_f64_e32 v[52:53], v[52:53], v[54:55]
	v_fma_f64 v[54:55], -v[50:51], v[52:53], 1.0
	s_delay_alu instid0(VALU_DEP_1) | instskip(SKIP_1) | instid1(VALU_DEP_1)
	v_fmac_f64_e32 v[52:53], v[52:53], v[54:55]
	v_div_scale_f64 v[54:55], vcc_lo, v[6:7], v[18:19], v[6:7]
	v_mul_f64_e32 v[98:99], v[54:55], v[52:53]
	s_delay_alu instid0(VALU_DEP_1) | instskip(NEXT) | instid1(VALU_DEP_1)
	v_fma_f64 v[50:51], -v[50:51], v[98:99], v[54:55]
	v_div_fmas_f64 v[50:51], v[50:51], v[52:53], v[98:99]
	s_delay_alu instid0(VALU_DEP_1) | instskip(SKIP_1) | instid1(VALU_DEP_2)
	v_div_fixup_f64 v[50:51], v[50:51], v[18:19], v[6:7]
	v_fma_f64 v[18:19], -v[48:49], v[14:15], v[4:5]
	v_add_f64_e64 v[52:53], v[50:51], -v[48:49]
	v_add_f64_e64 v[54:55], v[50:51], -v[30:31]
	v_fma_f64 v[4:5], v[50:51], v[14:15], -v[4:5]
	v_add_f64_e64 v[14:15], v[48:49], -v[30:31]
	s_delay_alu instid0(VALU_DEP_3) | instskip(NEXT) | instid1(VALU_DEP_2)
	v_mul_f64_e32 v[54:55], v[52:53], v[54:55]
	v_mul_f64_e32 v[14:15], v[52:53], v[14:15]
	s_delay_alu instid0(VALU_DEP_2) | instskip(NEXT) | instid1(VALU_DEP_2)
	v_div_scale_f64 v[98:99], null, v[54:55], v[54:55], v[18:19]
	v_div_scale_f64 v[30:31], null, v[14:15], v[14:15], v[4:5]
	s_delay_alu instid0(VALU_DEP_2) | instskip(NEXT) | instid1(VALU_DEP_1)
	v_rcp_f64_e32 v[100:101], v[98:99]
	v_rcp_f64_e32 v[48:49], v[30:31]
	s_delay_alu instid0(TRANS32_DEP_2) | instskip(NEXT) | instid1(TRANS32_DEP_1)
	v_fma_f64 v[102:103], -v[98:99], v[100:101], 1.0
	v_fma_f64 v[50:51], -v[30:31], v[48:49], 1.0
	s_delay_alu instid0(VALU_DEP_2) | instskip(NEXT) | instid1(VALU_DEP_2)
	v_fmac_f64_e32 v[100:101], v[100:101], v[102:103]
	v_fmac_f64_e32 v[48:49], v[48:49], v[50:51]
	s_delay_alu instid0(VALU_DEP_2) | instskip(NEXT) | instid1(VALU_DEP_2)
	v_fma_f64 v[102:103], -v[98:99], v[100:101], 1.0
	v_fma_f64 v[50:51], -v[30:31], v[48:49], 1.0
	s_delay_alu instid0(VALU_DEP_2) | instskip(SKIP_1) | instid1(VALU_DEP_3)
	v_fmac_f64_e32 v[100:101], v[100:101], v[102:103]
	v_div_scale_f64 v[102:103], vcc_lo, v[18:19], v[54:55], v[18:19]
	v_fmac_f64_e32 v[48:49], v[48:49], v[50:51]
	s_delay_alu instid0(VALU_DEP_2) | instskip(NEXT) | instid1(VALU_DEP_1)
	v_mul_f64_e32 v[112:113], v[102:103], v[100:101]
	v_fma_f64 v[98:99], -v[98:99], v[112:113], v[102:103]
	s_delay_alu instid0(VALU_DEP_1) | instskip(SKIP_1) | instid1(VALU_DEP_2)
	v_div_fmas_f64 v[98:99], v[98:99], v[100:101], v[112:113]
	v_div_scale_f64 v[50:51], vcc_lo, v[4:5], v[14:15], v[4:5]
	v_div_fixup_f64 v[18:19], v[98:99], v[54:55], v[18:19]
	s_delay_alu instid0(VALU_DEP_2) | instskip(NEXT) | instid1(VALU_DEP_1)
	v_mul_f64_e32 v[52:53], v[50:51], v[48:49]
	v_fma_f64 v[30:31], -v[30:31], v[52:53], v[50:51]
	s_delay_alu instid0(VALU_DEP_1) | instskip(NEXT) | instid1(VALU_DEP_1)
	v_div_fmas_f64 v[30:31], v[30:31], v[48:49], v[52:53]
	v_div_fixup_f64 v[30:31], v[30:31], v[14:15], v[4:5]
	s_delay_alu instid0(VALU_DEP_1) | instskip(NEXT) | instid1(VALU_DEP_1)
	v_add_f64_e64 v[4:5], v[34:35], -v[30:31]
	v_add_f64_e64 v[4:5], v[4:5], -v[18:19]
.LBB0_165:
	s_or_b32 exec_lo, exec_lo, s7
                                        ; implicit-def: $vgpr34_vgpr35
                                        ; implicit-def: $vgpr14_vgpr15
.LBB0_166:
	s_and_not1_saveexec_b32 s6, s6
	s_cbranch_execz .LBB0_168
; %bb.167:
	v_mul_f64_e32 v[0:1], 0xbff71547652b82fe, v[14:15]
	s_mov_b64 s[8:9], 0xbfe62e42fefa39ef
	v_cmp_nlt_f64_e32 vcc_lo, 0x4090cc00, v[14:15]
	s_delay_alu instid0(VALU_DEP_2) | instskip(NEXT) | instid1(VALU_DEP_1)
	v_rndne_f64_e32 v[0:1], v[0:1]
	v_fma_f64 v[2:3], v[0:1], s[8:9], -v[14:15]
	s_mov_b64 s[8:9], 0x3e5ade156a5dcb37
	v_cvt_i32_f64_e32 v18, v[0:1]
	s_delay_alu instid0(VALU_DEP_2) | instskip(NEXT) | instid1(VALU_DEP_1)
	v_fmamk_f64 v[2:3], v[0:1], 0xbc7abc9e3b39803f, v[2:3]
	v_fmaak_f64 v[4:5], s[8:9], v[2:3], 0x3e928af3fca7ab0c
	s_mov_b64 s[8:9], 0xbdbcdb693e0f0946
	s_delay_alu instid0(SALU_CYCLE_1) | instskip(SKIP_1) | instid1(VALU_DEP_2)
	v_fmaak_f64 v[6:7], s[8:9], v[34:35], 0x3df6446a140c5ae4
	s_mov_b64 s[8:9], 0xbde8d0bc7e3c759f
	v_fmaak_f64 v[4:5], v[2:3], v[4:5], 0x3ec71dee623fde64
	s_delay_alu instid0(VALU_DEP_2) | instskip(NEXT) | instid1(VALU_DEP_2)
	v_fmaak_f64 v[6:7], v[34:35], v[6:7], 0xbe2f0d64bf6cfa0d
	v_fmaak_f64 v[4:5], v[2:3], v[4:5], 0x3efa01997c89e6b0
	s_delay_alu instid0(VALU_DEP_1) | instskip(NEXT) | instid1(VALU_DEP_1)
	v_fmaak_f64 v[4:5], v[2:3], v[4:5], 0x3f2a01a014761f6e
	v_fmaak_f64 v[4:5], v[2:3], v[4:5], 0x3f56c16c1852b7b0
	s_delay_alu instid0(VALU_DEP_1) | instskip(NEXT) | instid1(VALU_DEP_1)
	;; [unrolled: 3-line block ×4, first 2 shown]
	v_fma_f64 v[4:5], v[2:3], v[4:5], 1.0
	v_fma_f64 v[0:1], v[2:3], v[4:5], 1.0
	v_fmaak_f64 v[2:3], v[34:35], v[6:7], 0x3e64300ebe769d26
	v_fmaak_f64 v[6:7], s[8:9], v[34:35], 0x3e02b1b64cd1b45e
	s_mov_b64 s[8:9], 0xbd9219c1465450e5
	s_delay_alu instid0(VALU_DEP_2) | instskip(NEXT) | instid1(VALU_DEP_1)
	v_fmaak_f64 v[2:3], v[34:35], v[2:3], 0xbe97d8f77a1bb26e
	v_fmaak_f64 v[2:3], v[34:35], v[2:3], 0x3ec95ae3fb25b7f4
	s_delay_alu instid0(VALU_DEP_1) | instskip(NEXT) | instid1(VALU_DEP_1)
	v_fmaak_f64 v[2:3], v[34:35], v[2:3], 0xbef803700919cc3e
	v_fmaak_f64 v[2:3], v[34:35], v[2:3], 0x3f240235b1c0ea5b
	v_ldexp_f64 v[0:1], v[0:1], v18
	v_add_f64_e32 v[4:5], v[14:15], v[14:15]
	s_delay_alu instid0(VALU_DEP_3) | instskip(NEXT) | instid1(VALU_DEP_1)
	v_fmaak_f64 v[2:3], v[34:35], v[2:3], 0xbf4ce64f9170f27f
	v_fmaak_f64 v[2:3], v[34:35], v[2:3], 0x3f71be83bc15cf63
	s_delay_alu instid0(VALU_DEP_1) | instskip(NEXT) | instid1(VALU_DEP_1)
	v_fmaak_f64 v[2:3], v[34:35], v[2:3], 0xbf91f24754e3eb97
	v_fmaak_f64 v[14:15], v[34:35], v[2:3], 0x3fab0ded65356efd
	;; [unrolled: 1-line block ×3, first 2 shown]
	v_dual_cndmask_b32 v19, 0, v1 :: v_dual_cndmask_b32 v18, 0, v0
	v_fmaak_f64 v[0:1], v[34:35], v[6:7], 0x3e5137a96ff616ed
	s_delay_alu instid0(VALU_DEP_3) | instskip(NEXT) | instid1(VALU_DEP_2)
	v_fmaak_f64 v[2:3], v[34:35], v[2:3], 0xbe1dcf001eb95e12
	v_fmaak_f64 v[0:1], v[34:35], v[0:1], 0xbe841b0aab4df8c8
	s_delay_alu instid0(VALU_DEP_2) | instskip(NEXT) | instid1(VALU_DEP_2)
	v_fmaak_f64 v[2:3], v[34:35], v[2:3], 0x3e6fd70c7ea1467b
	v_fmaak_f64 v[0:1], v[34:35], v[0:1], 0xbea78b8f2cdc5241
	s_delay_alu instid0(VALU_DEP_2) | instskip(NEXT) | instid1(VALU_DEP_2)
	;; [unrolled: 3-line block ×6, first 2 shown]
	v_fmaak_f64 v[6:7], v[34:35], v[2:3], 0xbf844435dad9d723
	v_fmaak_f64 v[0:1], v[34:35], v[0:1], 0xbfd0aaadd1130a9b
	s_delay_alu instid0(VALU_DEP_1) | instskip(NEXT) | instid1(VALU_DEP_3)
	v_fmaak_f64 v[2:3], v[34:35], v[0:1], 0x3ff1f1e161a3cbac
	v_fmaak_f64 v[0:1], v[34:35], v[6:7], 0x3faf5d55f26810e2
	s_delay_alu instid0(VALU_DEP_2) | instskip(SKIP_1) | instid1(VALU_DEP_1)
	v_add_f64_e32 v[6:7], 1.0, v[2:3]
	v_fmac_f64_e32 v[18:19], v[4:5], v[14:15]
	v_add_f64_e64 v[4:5], v[14:15], -v[18:19]
	s_delay_alu instid0(VALU_DEP_1) | instskip(SKIP_1) | instid1(VALU_DEP_2)
	v_fmac_f64_e32 v[14:15], v[0:1], v[4:5]
	v_add_f64_e64 v[4:5], v[2:3], -v[0:1]
	v_mul_f64_e32 v[6:7], v[6:7], v[14:15]
	s_delay_alu instid0(VALU_DEP_1) | instskip(NEXT) | instid1(VALU_DEP_1)
	v_div_scale_f64 v[14:15], null, v[4:5], v[4:5], v[6:7]
	v_rcp_f64_e32 v[30:31], v[14:15]
	v_nop
	s_delay_alu instid0(TRANS32_DEP_1) | instskip(NEXT) | instid1(VALU_DEP_1)
	v_fma_f64 v[34:35], -v[14:15], v[30:31], 1.0
	v_fmac_f64_e32 v[30:31], v[30:31], v[34:35]
	s_delay_alu instid0(VALU_DEP_1) | instskip(NEXT) | instid1(VALU_DEP_1)
	v_fma_f64 v[34:35], -v[14:15], v[30:31], 1.0
	v_fmac_f64_e32 v[30:31], v[30:31], v[34:35]
	v_div_scale_f64 v[34:35], vcc_lo, v[6:7], v[4:5], v[6:7]
	s_delay_alu instid0(VALU_DEP_1) | instskip(NEXT) | instid1(VALU_DEP_1)
	v_mul_f64_e32 v[48:49], v[34:35], v[30:31]
	v_fma_f64 v[14:15], -v[14:15], v[48:49], v[34:35]
	s_delay_alu instid0(VALU_DEP_1) | instskip(NEXT) | instid1(VALU_DEP_1)
	v_div_fmas_f64 v[14:15], v[14:15], v[30:31], v[48:49]
	v_div_fixup_f64 v[30:31], v[14:15], v[4:5], v[6:7]
	v_mov_b64_e32 v[6:7], 0
	s_delay_alu instid0(VALU_DEP_2)
	v_add_f64_e64 v[4:5], v[18:19], -v[30:31]
	v_mov_b64_e32 v[18:19], 0
.LBB0_168:
	s_or_b32 exec_lo, exec_lo, s6
                                        ; implicit-def: $vgpr34_vgpr35
                                        ; implicit-def: $vgpr14_vgpr15
.LBB0_169:
	s_and_not1_saveexec_b32 s1, s1
	s_cbranch_execz .LBB0_173
; %bb.170:
	scratch_load_b32 v2, off, s33 offset:744 ; 4-byte Folded Reload
	v_mov_b64_e32 v[18:19], 0
	v_mov_b64_e32 v[4:5], 0
	;; [unrolled: 1-line block ×3, first 2 shown]
	s_mov_b32 s6, exec_lo
	s_wait_loadcnt 0x0
	v_cmpx_eq_u32_e32 0, v2
	s_cbranch_execz .LBB0_172
; %bb.171:
	v_mul_f64_e32 v[0:1], 0xbff71547652b82fe, v[14:15]
	s_mov_b64 s[8:9], 0xbfe62e42fefa39ef
	v_cmp_nlt_f64_e32 vcc_lo, 0x4090cc00, v[14:15]
	s_delay_alu instid0(VALU_DEP_2) | instskip(NEXT) | instid1(VALU_DEP_1)
	v_rndne_f64_e32 v[0:1], v[0:1]
	v_fma_f64 v[2:3], v[0:1], s[8:9], -v[14:15]
	s_mov_b64 s[8:9], 0x3e5ade156a5dcb37
	v_cvt_i32_f64_e32 v30, v[0:1]
	s_delay_alu instid0(VALU_DEP_2) | instskip(NEXT) | instid1(VALU_DEP_1)
	v_fmamk_f64 v[2:3], v[0:1], 0xbc7abc9e3b39803f, v[2:3]
	v_fmaak_f64 v[4:5], s[8:9], v[2:3], 0x3e928af3fca7ab0c
	s_mov_b64 s[8:9], 0xbdbcdb693e0f0946
	s_delay_alu instid0(SALU_CYCLE_1) | instskip(NEXT) | instid1(VALU_DEP_2)
	v_fmaak_f64 v[6:7], s[8:9], v[34:35], 0x3df6446a140c5ae4
	v_fmaak_f64 v[4:5], v[2:3], v[4:5], 0x3ec71dee623fde64
	s_delay_alu instid0(VALU_DEP_2) | instskip(NEXT) | instid1(VALU_DEP_2)
	v_fmaak_f64 v[6:7], v[34:35], v[6:7], 0xbe2f0d64bf6cfa0d
	v_fmaak_f64 v[4:5], v[2:3], v[4:5], 0x3efa01997c89e6b0
	s_delay_alu instid0(VALU_DEP_1) | instskip(NEXT) | instid1(VALU_DEP_1)
	v_fmaak_f64 v[4:5], v[2:3], v[4:5], 0x3f2a01a014761f6e
	v_fmaak_f64 v[4:5], v[2:3], v[4:5], 0x3f56c16c1852b7b0
	s_delay_alu instid0(VALU_DEP_1) | instskip(NEXT) | instid1(VALU_DEP_1)
	;; [unrolled: 3-line block ×4, first 2 shown]
	v_fma_f64 v[4:5], v[2:3], v[4:5], 1.0
	v_fma_f64 v[0:1], v[2:3], v[4:5], 1.0
	v_fmaak_f64 v[2:3], v[34:35], v[6:7], 0x3e64300ebe769d26
	s_delay_alu instid0(VALU_DEP_1) | instskip(NEXT) | instid1(VALU_DEP_1)
	v_fmaak_f64 v[2:3], v[34:35], v[2:3], 0xbe97d8f77a1bb26e
	v_fmaak_f64 v[2:3], v[34:35], v[2:3], 0x3ec95ae3fb25b7f4
	s_delay_alu instid0(VALU_DEP_1) | instskip(NEXT) | instid1(VALU_DEP_1)
	v_fmaak_f64 v[2:3], v[34:35], v[2:3], 0xbef803700919cc3e
	v_fmaak_f64 v[2:3], v[34:35], v[2:3], 0x3f240235b1c0ea5b
	v_ldexp_f64 v[0:1], v[0:1], v30
	v_add_f64_e32 v[6:7], v[14:15], v[14:15]
	s_delay_alu instid0(VALU_DEP_3) | instskip(NEXT) | instid1(VALU_DEP_1)
	v_fmaak_f64 v[2:3], v[34:35], v[2:3], 0xbf4ce64f9170f27f
	v_fmaak_f64 v[2:3], v[34:35], v[2:3], 0x3f71be83bc15cf63
	s_delay_alu instid0(VALU_DEP_1) | instskip(NEXT) | instid1(VALU_DEP_1)
	v_fmaak_f64 v[2:3], v[34:35], v[2:3], 0xbf91f24754e3eb97
	v_fmaak_f64 v[2:3], v[34:35], v[2:3], 0x3fab0ded65356efd
	v_dual_cndmask_b32 v5, 0, v1 :: v_dual_cndmask_b32 v4, 0, v0
	s_delay_alu instid0(VALU_DEP_1) | instskip(NEXT) | instid1(VALU_DEP_1)
	v_fmac_f64_e32 v[4:5], v[6:7], v[2:3]
	v_add_f64_e64 v[0:1], v[4:5], -v[2:3]
	s_delay_alu instid0(VALU_DEP_1) | instskip(NEXT) | instid1(VALU_DEP_1)
	v_div_scale_f64 v[6:7], null, v[0:1], v[0:1], v[2:3]
	v_rcp_f64_e32 v[14:15], v[6:7]
	v_nop
	s_delay_alu instid0(TRANS32_DEP_1) | instskip(NEXT) | instid1(VALU_DEP_1)
	v_fma_f64 v[30:31], -v[6:7], v[14:15], 1.0
	v_fmac_f64_e32 v[14:15], v[14:15], v[30:31]
	s_delay_alu instid0(VALU_DEP_1) | instskip(NEXT) | instid1(VALU_DEP_1)
	v_fma_f64 v[30:31], -v[6:7], v[14:15], 1.0
	v_fmac_f64_e32 v[14:15], v[14:15], v[30:31]
	v_div_scale_f64 v[30:31], vcc_lo, v[2:3], v[0:1], v[2:3]
	s_delay_alu instid0(VALU_DEP_1) | instskip(NEXT) | instid1(VALU_DEP_1)
	v_mul_f64_e32 v[34:35], v[30:31], v[14:15]
	v_fma_f64 v[6:7], -v[6:7], v[34:35], v[30:31]
	s_delay_alu instid0(VALU_DEP_1) | instskip(NEXT) | instid1(VALU_DEP_1)
	v_div_fmas_f64 v[6:7], v[6:7], v[14:15], v[34:35]
	v_div_fixup_f64 v[0:1], v[6:7], v[0:1], v[2:3]
.LBB0_172:
	s_or_b32 exec_lo, exec_lo, s6
	v_mov_b64_e32 v[30:31], 0
	v_mov_b64_e32 v[6:7], 0
	;; [unrolled: 1-line block ×3, first 2 shown]
.LBB0_173:
	s_or_b32 exec_lo, exec_lo, s1
	s_delay_alu instid0(SALU_CYCLE_1)
	s_or_b32 exec_lo, exec_lo, s0
                                        ; implicit-def: $vgpr14_vgpr15
.LBB0_174:
	s_and_not1_saveexec_b32 s0, s5
	s_cbranch_execz .LBB0_299
.LBB0_175:
	scratch_load_b32 v0, off, s33 offset:744 ; 4-byte Folded Reload
	v_add_f64_e32 v[34:35], -2.0, v[14:15]
                                        ; implicit-def: $vgpr18_vgpr19
                                        ; implicit-def: $vgpr30_vgpr31
                                        ; implicit-def: $vgpr4_vgpr5
                                        ; implicit-def: $vgpr6_vgpr7
                                        ; implicit-def: $vgpr2_vgpr3
	s_wait_loadcnt 0x0
	v_cmp_lt_i32_e32 vcc_lo, 0, v0
                                        ; implicit-def: $vgpr0_vgpr1
	s_wait_xcnt 0x0
	s_and_saveexec_b32 s1, vcc_lo
	s_delay_alu instid0(SALU_CYCLE_1)
	s_xor_b32 s1, exec_lo, s1
	s_cbranch_execz .LBB0_183
; %bb.176:
	scratch_load_b32 v0, off, s33 offset:744 ; 4-byte Folded Reload
                                        ; implicit-def: $vgpr18_vgpr19
                                        ; implicit-def: $vgpr30_vgpr31
                                        ; implicit-def: $vgpr4_vgpr5
                                        ; implicit-def: $vgpr6_vgpr7
                                        ; implicit-def: $vgpr2_vgpr3
	s_wait_loadcnt 0x0
	v_cmp_lt_i32_e32 vcc_lo, 1, v0
                                        ; implicit-def: $vgpr0_vgpr1
	s_wait_xcnt 0x0
	s_and_saveexec_b32 s5, vcc_lo
	s_delay_alu instid0(SALU_CYCLE_1)
	s_xor_b32 s5, exec_lo, s5
	s_cbranch_execz .LBB0_180
; %bb.177:
	scratch_load_b32 v48, off, s33 offset:744 ; 4-byte Folded Reload
	v_mov_b64_e32 v[18:19], 0
	v_mov_b64_e32 v[30:31], 0
	v_mov_b64_e32 v[4:5], 0
	v_mov_b64_e32 v[6:7], 0
	v_mov_b64_e32 v[2:3], 0
	v_mov_b64_e32 v[0:1], 0
	s_mov_b32 s6, exec_lo
	s_wait_loadcnt 0x0
	v_cmpx_eq_u32_e32 2, v48
	s_cbranch_execz .LBB0_179
; %bb.178:
	s_mov_b64 s[8:9], 0x3d79742ab73671b8
	v_mul_f64_e32 v[18:19], 0xbff71547652b82fe, v[14:15]
	v_fmaak_f64 v[0:1], s[8:9], v[34:35], 0x3d9557fe6e2875fe
	s_mov_b64 s[8:9], 0x3e07e9c42a6ec53b
	v_cmp_nlt_f64_e32 vcc_lo, 0x4090cc00, v[14:15]
	v_fmaak_f64 v[2:3], s[8:9], v[34:35], 0xbe36fd7c690fd1e2
	s_mov_b64 s[8:9], 0xbdf35823ee3dd1b9
	s_delay_alu instid0(SALU_CYCLE_1) | instskip(SKIP_2) | instid1(VALU_DEP_3)
	v_fmaak_f64 v[4:5], s[8:9], v[34:35], 0x3e2f03c01423d8c5
	s_mov_b64 s[8:9], 0xbde458d7e345a90d
	v_fmaak_f64 v[0:1], v[34:35], v[0:1], 0xbe06824e26273604
	v_fmaak_f64 v[2:3], v[34:35], v[2:3], 0xbe721b452e3bd51f
	s_delay_alu instid0(VALU_DEP_3) | instskip(NEXT) | instid1(VALU_DEP_3)
	v_fmaak_f64 v[4:5], v[34:35], v[4:5], 0x3e685aaaf792de63
	v_fmaak_f64 v[0:1], v[34:35], v[0:1], 0x3e50d064ef7e01c8
	s_delay_alu instid0(VALU_DEP_3) | instskip(NEXT) | instid1(VALU_DEP_3)
	;; [unrolled: 3-line block ×4, first 2 shown]
	v_fmaak_f64 v[4:5], v[34:35], v[4:5], 0xbed9696e9042bedd
	v_fmaak_f64 v[0:1], v[34:35], v[0:1], 0x3ed031ea694be0de
	v_rndne_f64_e32 v[18:19], v[18:19]
	s_delay_alu instid0(VALU_DEP_4) | instskip(NEXT) | instid1(VALU_DEP_4)
	v_fmaak_f64 v[2:3], v[34:35], v[2:3], 0xbf3980cfa75c0a4a
	v_fmaak_f64 v[4:5], v[34:35], v[4:5], 0xbf0b0d26f3278880
	s_delay_alu instid0(VALU_DEP_4) | instskip(NEXT) | instid1(VALU_DEP_3)
	v_fmaak_f64 v[0:1], v[34:35], v[0:1], 0xbf0aeb276ff4e7df
	v_fmaak_f64 v[2:3], v[34:35], v[2:3], 0x3f7ec890df9a27a1
	s_delay_alu instid0(VALU_DEP_3) | instskip(NEXT) | instid1(VALU_DEP_3)
	v_fmaak_f64 v[4:5], v[34:35], v[4:5], 0x3f018d17f6a3e05e
	v_fmaak_f64 v[0:1], v[34:35], v[0:1], 0x3f43c3f660b179fa
	s_delay_alu instid0(VALU_DEP_3) | instskip(NEXT) | instid1(VALU_DEP_3)
	;; [unrolled: 3-line block ×4, first 2 shown]
	v_fmaak_f64 v[4:5], v[34:35], v[4:5], 0xbfea6404048183c4
	v_fmaak_f64 v[0:1], v[34:35], v[0:1], 0x3fa72c08a08ba49f
	s_delay_alu instid0(VALU_DEP_2) | instskip(SKIP_2) | instid1(SALU_CYCLE_1)
	v_fmaak_f64 v[6:7], v[34:35], v[4:5], 0x40133fd7ce70067f
	v_fmaak_f64 v[4:5], s[8:9], v[34:35], 0x3e1e9b6dd9876fd2
	s_mov_b64 s[8:9], 0xbfe62e42fefa39ef
	v_fma_f64 v[30:31], v[18:19], s[8:9], -v[14:15]
	s_mov_b64 s[8:9], 0x3e5ade156a5dcb37
	s_delay_alu instid0(VALU_DEP_2) | instskip(NEXT) | instid1(VALU_DEP_1)
	v_fmaak_f64 v[4:5], v[34:35], v[4:5], 0xbe54abc9dcd5a1c0
	v_fmaak_f64 v[4:5], v[34:35], v[4:5], 0x3e89e0b77a80ab49
	s_delay_alu instid0(VALU_DEP_1) | instskip(NEXT) | instid1(VALU_DEP_1)
	v_fmaak_f64 v[4:5], v[34:35], v[4:5], 0xbebd28ef48445f5a
	v_fmaak_f64 v[4:5], v[34:35], v[4:5], 0x3eed30fbd81b5e0e
	v_fmamk_f64 v[30:31], v[18:19], 0xbc7abc9e3b39803f, v[30:31]
	s_delay_alu instid0(VALU_DEP_2) | instskip(SKIP_1) | instid1(VALU_DEP_2)
	v_fmaak_f64 v[4:5], v[34:35], v[4:5], 0xbf198c42788e5623
	v_cvt_i32_f64_e32 v18, v[18:19]
	v_fmaak_f64 v[4:5], v[34:35], v[4:5], 0x3f43207166f5603f
	s_delay_alu instid0(VALU_DEP_1) | instskip(NEXT) | instid1(VALU_DEP_1)
	v_fmaak_f64 v[4:5], v[34:35], v[4:5], 0xbf67c0ceb5a64525
	v_fmaak_f64 v[4:5], v[34:35], v[4:5], 0x3f8750dc9539a628
	s_delay_alu instid0(VALU_DEP_1) | instskip(NEXT) | instid1(VALU_DEP_1)
	v_fmaak_f64 v[4:5], v[34:35], v[4:5], 0xbfa08f7bf5ea9c3d
	v_fmaak_f64 v[4:5], v[34:35], v[4:5], 0x3fab1b521488161d
	;; [unrolled: 1-line block ×3, first 2 shown]
	s_delay_alu instid0(VALU_DEP_1) | instskip(NEXT) | instid1(VALU_DEP_1)
	v_fmaak_f64 v[34:35], v[30:31], v[34:35], 0x3ec71dee623fde64
	v_fmaak_f64 v[34:35], v[30:31], v[34:35], 0x3efa01997c89e6b0
	s_delay_alu instid0(VALU_DEP_1) | instskip(NEXT) | instid1(VALU_DEP_1)
	v_fmaak_f64 v[34:35], v[30:31], v[34:35], 0x3f2a01a014761f6e
	v_fmaak_f64 v[34:35], v[30:31], v[34:35], 0x3f56c16c1852b7b0
	;; [unrolled: 3-line block ×4, first 2 shown]
	s_delay_alu instid0(VALU_DEP_1) | instskip(NEXT) | instid1(VALU_DEP_1)
	v_fma_f64 v[34:35], v[30:31], v[34:35], 1.0
	v_fma_f64 v[30:31], v[30:31], v[34:35], 1.0
	s_delay_alu instid0(VALU_DEP_1) | instskip(NEXT) | instid1(VALU_DEP_1)
	v_ldexp_f64 v[18:19], v[30:31], v18
	v_dual_cndmask_b32 v35, 0, v19 :: v_dual_cndmask_b32 v34, 0, v18
	v_add_f64_e32 v[18:19], v[14:15], v[14:15]
	s_delay_alu instid0(VALU_DEP_1) | instskip(NEXT) | instid1(VALU_DEP_1)
	v_fma_f64 v[14:15], v[18:19], v[4:5], v[34:35]
	v_div_scale_f64 v[30:31], null, 0x40080000, 0x40080000, v[14:15]
	s_delay_alu instid0(VALU_DEP_1) | instskip(SKIP_1) | instid1(TRANS32_DEP_1)
	v_rcp_f64_e32 v[48:49], v[30:31]
	v_nop
	v_fma_f64 v[50:51], -v[30:31], v[48:49], 1.0
	s_delay_alu instid0(VALU_DEP_1) | instskip(NEXT) | instid1(VALU_DEP_1)
	v_fmac_f64_e32 v[48:49], v[48:49], v[50:51]
	v_fma_f64 v[50:51], -v[30:31], v[48:49], 1.0
	s_delay_alu instid0(VALU_DEP_1) | instskip(SKIP_1) | instid1(VALU_DEP_1)
	v_fmac_f64_e32 v[48:49], v[48:49], v[50:51]
	v_div_scale_f64 v[50:51], vcc_lo, v[14:15], 0x40080000, v[14:15]
	v_mul_f64_e32 v[52:53], v[50:51], v[48:49]
	s_delay_alu instid0(VALU_DEP_1) | instskip(NEXT) | instid1(VALU_DEP_1)
	v_fma_f64 v[30:31], -v[30:31], v[52:53], v[50:51]
	v_div_fmas_f64 v[30:31], v[30:31], v[48:49], v[52:53]
	s_delay_alu instid0(VALU_DEP_1) | instskip(NEXT) | instid1(VALU_DEP_1)
	v_div_fixup_f64 v[14:15], v[30:31], 0x40080000, v[14:15]
	v_fmac_f64_e32 v[34:35], v[18:19], v[14:15]
	v_add_f64_e32 v[18:19], 1.0, v[0:1]
	s_delay_alu instid0(VALU_DEP_1) | instskip(NEXT) | instid1(VALU_DEP_1)
	v_div_scale_f64 v[30:31], null, v[18:19], v[18:19], v[0:1]
	v_rcp_f64_e32 v[48:49], v[30:31]
	v_nop
	s_delay_alu instid0(TRANS32_DEP_1) | instskip(NEXT) | instid1(VALU_DEP_1)
	v_fma_f64 v[50:51], -v[30:31], v[48:49], 1.0
	v_fmac_f64_e32 v[48:49], v[48:49], v[50:51]
	s_delay_alu instid0(VALU_DEP_1) | instskip(NEXT) | instid1(VALU_DEP_1)
	v_fma_f64 v[50:51], -v[30:31], v[48:49], 1.0
	v_fmac_f64_e32 v[48:49], v[48:49], v[50:51]
	v_div_scale_f64 v[50:51], vcc_lo, v[0:1], v[18:19], v[0:1]
	s_delay_alu instid0(VALU_DEP_1) | instskip(NEXT) | instid1(VALU_DEP_1)
	v_mul_f64_e32 v[52:53], v[50:51], v[48:49]
	v_fma_f64 v[30:31], -v[30:31], v[52:53], v[50:51]
	s_delay_alu instid0(VALU_DEP_1) | instskip(NEXT) | instid1(VALU_DEP_1)
	v_div_fmas_f64 v[30:31], v[30:31], v[48:49], v[52:53]
	v_div_fixup_f64 v[30:31], v[30:31], v[18:19], v[0:1]
	v_add_f64_e32 v[18:19], 1.0, v[2:3]
	s_delay_alu instid0(VALU_DEP_2) | instskip(NEXT) | instid1(VALU_DEP_2)
	v_fma_f64 v[4:5], -v[30:31], v[14:15], v[4:5]
	v_div_scale_f64 v[48:49], null, v[18:19], v[18:19], v[2:3]
	v_fma_f64 v[14:15], -v[30:31], v[34:35], v[14:15]
	s_delay_alu instid0(VALU_DEP_2) | instskip(SKIP_1) | instid1(TRANS32_DEP_1)
	v_rcp_f64_e32 v[50:51], v[48:49]
	v_nop
	v_fma_f64 v[52:53], -v[48:49], v[50:51], 1.0
	s_delay_alu instid0(VALU_DEP_1) | instskip(NEXT) | instid1(VALU_DEP_1)
	v_fmac_f64_e32 v[50:51], v[50:51], v[52:53]
	v_fma_f64 v[52:53], -v[48:49], v[50:51], 1.0
	s_delay_alu instid0(VALU_DEP_1) | instskip(SKIP_1) | instid1(VALU_DEP_1)
	v_fmac_f64_e32 v[50:51], v[50:51], v[52:53]
	v_div_scale_f64 v[52:53], vcc_lo, v[2:3], v[18:19], v[2:3]
	v_mul_f64_e32 v[54:55], v[52:53], v[50:51]
	s_delay_alu instid0(VALU_DEP_1) | instskip(NEXT) | instid1(VALU_DEP_1)
	v_fma_f64 v[48:49], -v[48:49], v[54:55], v[52:53]
	v_div_fmas_f64 v[48:49], v[48:49], v[50:51], v[54:55]
	s_delay_alu instid0(VALU_DEP_1) | instskip(SKIP_1) | instid1(VALU_DEP_1)
	v_div_fixup_f64 v[48:49], v[48:49], v[18:19], v[2:3]
	v_add_f64_e32 v[18:19], 1.0, v[6:7]
	v_div_scale_f64 v[50:51], null, v[18:19], v[18:19], v[6:7]
	s_delay_alu instid0(VALU_DEP_1) | instskip(SKIP_1) | instid1(TRANS32_DEP_1)
	v_rcp_f64_e32 v[52:53], v[50:51]
	v_nop
	v_fma_f64 v[54:55], -v[50:51], v[52:53], 1.0
	s_delay_alu instid0(VALU_DEP_1) | instskip(NEXT) | instid1(VALU_DEP_1)
	v_fmac_f64_e32 v[52:53], v[52:53], v[54:55]
	v_fma_f64 v[54:55], -v[50:51], v[52:53], 1.0
	s_delay_alu instid0(VALU_DEP_1) | instskip(SKIP_1) | instid1(VALU_DEP_1)
	v_fmac_f64_e32 v[52:53], v[52:53], v[54:55]
	v_div_scale_f64 v[54:55], vcc_lo, v[6:7], v[18:19], v[6:7]
	v_mul_f64_e32 v[98:99], v[54:55], v[52:53]
	s_delay_alu instid0(VALU_DEP_1) | instskip(NEXT) | instid1(VALU_DEP_1)
	v_fma_f64 v[50:51], -v[50:51], v[98:99], v[54:55]
	v_div_fmas_f64 v[50:51], v[50:51], v[52:53], v[98:99]
	s_delay_alu instid0(VALU_DEP_1) | instskip(SKIP_1) | instid1(VALU_DEP_2)
	v_div_fixup_f64 v[50:51], v[50:51], v[18:19], v[6:7]
	v_fma_f64 v[18:19], -v[48:49], v[14:15], v[4:5]
	v_add_f64_e64 v[52:53], v[50:51], -v[48:49]
	v_add_f64_e64 v[54:55], v[50:51], -v[30:31]
	v_fma_f64 v[4:5], v[50:51], v[14:15], -v[4:5]
	v_add_f64_e64 v[14:15], v[48:49], -v[30:31]
	s_delay_alu instid0(VALU_DEP_3) | instskip(NEXT) | instid1(VALU_DEP_2)
	v_mul_f64_e32 v[54:55], v[52:53], v[54:55]
	v_mul_f64_e32 v[14:15], v[52:53], v[14:15]
	s_delay_alu instid0(VALU_DEP_2) | instskip(NEXT) | instid1(VALU_DEP_2)
	v_div_scale_f64 v[98:99], null, v[54:55], v[54:55], v[18:19]
	v_div_scale_f64 v[30:31], null, v[14:15], v[14:15], v[4:5]
	s_delay_alu instid0(VALU_DEP_2) | instskip(NEXT) | instid1(VALU_DEP_1)
	v_rcp_f64_e32 v[100:101], v[98:99]
	v_rcp_f64_e32 v[48:49], v[30:31]
	s_delay_alu instid0(TRANS32_DEP_2) | instskip(NEXT) | instid1(TRANS32_DEP_1)
	v_fma_f64 v[102:103], -v[98:99], v[100:101], 1.0
	v_fma_f64 v[50:51], -v[30:31], v[48:49], 1.0
	s_delay_alu instid0(VALU_DEP_2) | instskip(NEXT) | instid1(VALU_DEP_2)
	v_fmac_f64_e32 v[100:101], v[100:101], v[102:103]
	v_fmac_f64_e32 v[48:49], v[48:49], v[50:51]
	s_delay_alu instid0(VALU_DEP_2) | instskip(NEXT) | instid1(VALU_DEP_2)
	v_fma_f64 v[102:103], -v[98:99], v[100:101], 1.0
	v_fma_f64 v[50:51], -v[30:31], v[48:49], 1.0
	s_delay_alu instid0(VALU_DEP_2) | instskip(SKIP_1) | instid1(VALU_DEP_3)
	v_fmac_f64_e32 v[100:101], v[100:101], v[102:103]
	v_div_scale_f64 v[102:103], vcc_lo, v[18:19], v[54:55], v[18:19]
	v_fmac_f64_e32 v[48:49], v[48:49], v[50:51]
	s_delay_alu instid0(VALU_DEP_2) | instskip(NEXT) | instid1(VALU_DEP_1)
	v_mul_f64_e32 v[112:113], v[102:103], v[100:101]
	v_fma_f64 v[98:99], -v[98:99], v[112:113], v[102:103]
	s_delay_alu instid0(VALU_DEP_1) | instskip(SKIP_1) | instid1(VALU_DEP_2)
	v_div_fmas_f64 v[98:99], v[98:99], v[100:101], v[112:113]
	v_div_scale_f64 v[50:51], vcc_lo, v[4:5], v[14:15], v[4:5]
	v_div_fixup_f64 v[18:19], v[98:99], v[54:55], v[18:19]
	s_delay_alu instid0(VALU_DEP_2) | instskip(NEXT) | instid1(VALU_DEP_1)
	v_mul_f64_e32 v[52:53], v[50:51], v[48:49]
	v_fma_f64 v[30:31], -v[30:31], v[52:53], v[50:51]
	s_delay_alu instid0(VALU_DEP_1) | instskip(NEXT) | instid1(VALU_DEP_1)
	v_div_fmas_f64 v[30:31], v[30:31], v[48:49], v[52:53]
	v_div_fixup_f64 v[30:31], v[30:31], v[14:15], v[4:5]
	s_delay_alu instid0(VALU_DEP_1) | instskip(NEXT) | instid1(VALU_DEP_1)
	v_add_f64_e64 v[4:5], v[34:35], -v[30:31]
	v_add_f64_e64 v[4:5], v[4:5], -v[18:19]
.LBB0_179:
	s_or_b32 exec_lo, exec_lo, s6
                                        ; implicit-def: $vgpr34_vgpr35
                                        ; implicit-def: $vgpr14_vgpr15
.LBB0_180:
	s_and_not1_saveexec_b32 s5, s5
	s_cbranch_execz .LBB0_182
; %bb.181:
	v_mul_f64_e32 v[0:1], 0xbff71547652b82fe, v[14:15]
	s_mov_b64 s[6:7], 0xbfe62e42fefa39ef
	v_cmp_nlt_f64_e32 vcc_lo, 0x4090cc00, v[14:15]
	s_mov_b64 s[8:9], 0x3de3f9646e8b0aa0
	s_delay_alu instid0(VALU_DEP_2) | instskip(NEXT) | instid1(VALU_DEP_1)
	v_rndne_f64_e32 v[0:1], v[0:1]
	v_fma_f64 v[2:3], v[0:1], s[6:7], -v[14:15]
	s_mov_b64 s[6:7], 0x3e5ade156a5dcb37
	v_cvt_i32_f64_e32 v18, v[0:1]
	s_delay_alu instid0(VALU_DEP_2) | instskip(NEXT) | instid1(VALU_DEP_1)
	v_fmamk_f64 v[2:3], v[0:1], 0xbc7abc9e3b39803f, v[2:3]
	v_fmaak_f64 v[4:5], s[6:7], v[2:3], 0x3e928af3fca7ab0c
	s_mov_b64 s[6:7], 0xbde639692e6d26f8
	s_delay_alu instid0(SALU_CYCLE_1) | instskip(SKIP_1) | instid1(VALU_DEP_2)
	v_fmaak_f64 v[6:7], s[6:7], v[34:35], 0x3e20dad1a9d197ff
	s_mov_b64 s[6:7], 0xbd9c0266ed19fefa
	v_fmaak_f64 v[4:5], v[2:3], v[4:5], 0x3ec71dee623fde64
	s_delay_alu instid0(VALU_DEP_2) | instskip(NEXT) | instid1(VALU_DEP_2)
	v_fmaak_f64 v[6:7], v[34:35], v[6:7], 0xbe5700d50c75966b
	v_fmaak_f64 v[4:5], v[2:3], v[4:5], 0x3efa01997c89e6b0
	s_delay_alu instid0(VALU_DEP_1) | instskip(NEXT) | instid1(VALU_DEP_1)
	v_fmaak_f64 v[4:5], v[2:3], v[4:5], 0x3f2a01a014761f6e
	v_fmaak_f64 v[4:5], v[2:3], v[4:5], 0x3f56c16c1852b7b0
	s_delay_alu instid0(VALU_DEP_1) | instskip(NEXT) | instid1(VALU_DEP_1)
	;; [unrolled: 3-line block ×4, first 2 shown]
	v_fma_f64 v[4:5], v[2:3], v[4:5], 1.0
	v_fma_f64 v[0:1], v[2:3], v[4:5], 1.0
	v_fmaak_f64 v[2:3], v[34:35], v[6:7], 0x3e8d278109166491
	v_fmaak_f64 v[6:7], s[6:7], v[34:35], 0x3dd74b2adef0c7e3
	s_delay_alu instid0(VALU_DEP_2) | instskip(NEXT) | instid1(VALU_DEP_1)
	v_fmaak_f64 v[2:3], v[34:35], v[2:3], 0xbec0ae4660b81f04
	v_fmaak_f64 v[2:3], v[34:35], v[2:3], 0x3ef1082dcc2ea1d8
	s_delay_alu instid0(VALU_DEP_1) | instskip(NEXT) | instid1(VALU_DEP_1)
	v_fmaak_f64 v[2:3], v[34:35], v[2:3], 0xbf1e9a4f0c7fe5e0
	v_fmaak_f64 v[2:3], v[34:35], v[2:3], 0x3f47c0ceb2de1fa1
	v_ldexp_f64 v[0:1], v[0:1], v18
	v_add_f64_e32 v[4:5], v[14:15], v[14:15]
	v_fmaak_f64 v[14:15], s[8:9], v[34:35], 0x3e21ca6de5bda7a1
	s_delay_alu instid0(VALU_DEP_4) | instskip(NEXT) | instid1(VALU_DEP_1)
	v_fmaak_f64 v[2:3], v[34:35], v[2:3], 0xbf6f167b71a03f85
	v_fmaak_f64 v[2:3], v[34:35], v[2:3], 0x3f908f7bf5ec8499
	s_delay_alu instid0(VALU_DEP_1) | instskip(NEXT) | instid1(VALU_DEP_1)
	v_fmaak_f64 v[2:3], v[34:35], v[2:3], 0xbfab1b52148817a2
	v_fmaak_f64 v[18:19], v[34:35], v[2:3], 0x3fbd9ea87ada65b7
	;; [unrolled: 1-line block ×3, first 2 shown]
	v_dual_cndmask_b32 v49, 0, v1 :: v_dual_cndmask_b32 v48, 0, v0
	v_fmaak_f64 v[0:1], v[34:35], v[14:15], 0xbe542cbd0dbd3a56
	s_delay_alu instid0(VALU_DEP_3) | instskip(NEXT) | instid1(VALU_DEP_2)
	v_fmaak_f64 v[2:3], v[34:35], v[2:3], 0xbdfa6ea40000fe46
	v_fmaak_f64 v[0:1], v[34:35], v[0:1], 0xbe8729ef9cefcdd4
	s_delay_alu instid0(VALU_DEP_2) | instskip(NEXT) | instid1(VALU_DEP_2)
	v_fmaak_f64 v[2:3], v[34:35], v[2:3], 0x3e76be1694076a4f
	v_fmaak_f64 v[0:1], v[34:35], v[0:1], 0x3ec2da3b859e5a97
	s_delay_alu instid0(VALU_DEP_2) | instskip(NEXT) | instid1(VALU_DEP_2)
	;; [unrolled: 3-line block ×6, first 2 shown]
	v_fmaak_f64 v[6:7], v[34:35], v[2:3], 0xbf90b994a4491edf
	v_fmaak_f64 v[0:1], v[34:35], v[0:1], 0xbfdb919909fc04e6
	s_delay_alu instid0(VALU_DEP_1) | instskip(NEXT) | instid1(VALU_DEP_3)
	v_fmaak_f64 v[2:3], v[34:35], v[0:1], 0x3ffcdd3952a11fb4
	v_fmaak_f64 v[0:1], v[34:35], v[6:7], 0x3fb639161c218ec3
	s_delay_alu instid0(VALU_DEP_2) | instskip(SKIP_1) | instid1(VALU_DEP_1)
	v_add_f64_e32 v[6:7], 1.0, v[2:3]
	v_fmac_f64_e32 v[48:49], v[4:5], v[18:19]
	v_add_f64_e64 v[4:5], v[18:19], -v[48:49]
	s_delay_alu instid0(VALU_DEP_1) | instskip(SKIP_1) | instid1(VALU_DEP_2)
	v_fmac_f64_e32 v[18:19], v[0:1], v[4:5]
	v_add_f64_e64 v[4:5], v[2:3], -v[0:1]
	v_mul_f64_e32 v[6:7], v[6:7], v[18:19]
	s_delay_alu instid0(VALU_DEP_1) | instskip(NEXT) | instid1(VALU_DEP_1)
	v_div_scale_f64 v[14:15], null, v[4:5], v[4:5], v[6:7]
	v_rcp_f64_e32 v[18:19], v[14:15]
	v_nop
	s_delay_alu instid0(TRANS32_DEP_1) | instskip(NEXT) | instid1(VALU_DEP_1)
	v_fma_f64 v[30:31], -v[14:15], v[18:19], 1.0
	v_fmac_f64_e32 v[18:19], v[18:19], v[30:31]
	s_delay_alu instid0(VALU_DEP_1) | instskip(NEXT) | instid1(VALU_DEP_1)
	v_fma_f64 v[30:31], -v[14:15], v[18:19], 1.0
	v_fmac_f64_e32 v[18:19], v[18:19], v[30:31]
	v_div_scale_f64 v[30:31], vcc_lo, v[6:7], v[4:5], v[6:7]
	s_delay_alu instid0(VALU_DEP_1) | instskip(NEXT) | instid1(VALU_DEP_1)
	v_mul_f64_e32 v[34:35], v[30:31], v[18:19]
	v_fma_f64 v[14:15], -v[14:15], v[34:35], v[30:31]
	s_delay_alu instid0(VALU_DEP_1) | instskip(SKIP_1) | instid1(VALU_DEP_2)
	v_div_fmas_f64 v[14:15], v[14:15], v[18:19], v[34:35]
	v_mov_b64_e32 v[18:19], 0
	v_div_fixup_f64 v[30:31], v[14:15], v[4:5], v[6:7]
	v_mov_b64_e32 v[6:7], 0
	s_delay_alu instid0(VALU_DEP_2)
	v_add_f64_e64 v[4:5], v[48:49], -v[30:31]
.LBB0_182:
	s_or_b32 exec_lo, exec_lo, s5
                                        ; implicit-def: $vgpr34_vgpr35
                                        ; implicit-def: $vgpr14_vgpr15
.LBB0_183:
	s_and_not1_saveexec_b32 s1, s1
	s_cbranch_execz .LBB0_187
; %bb.184:
	scratch_load_b32 v2, off, s33 offset:744 ; 4-byte Folded Reload
	v_mov_b64_e32 v[18:19], 0
	v_mov_b64_e32 v[4:5], 0
	;; [unrolled: 1-line block ×3, first 2 shown]
	s_mov_b32 s5, exec_lo
	s_wait_loadcnt 0x0
	v_cmpx_eq_u32_e32 0, v2
	s_cbranch_execz .LBB0_186
; %bb.185:
	v_mul_f64_e32 v[0:1], 0xbff71547652b82fe, v[14:15]
	s_mov_b64 s[6:7], 0xbfe62e42fefa39ef
	v_cmp_nlt_f64_e32 vcc_lo, 0x4090cc00, v[14:15]
	s_delay_alu instid0(VALU_DEP_2) | instskip(NEXT) | instid1(VALU_DEP_1)
	v_rndne_f64_e32 v[0:1], v[0:1]
	v_fma_f64 v[2:3], v[0:1], s[6:7], -v[14:15]
	s_mov_b64 s[6:7], 0x3e5ade156a5dcb37
	v_cvt_i32_f64_e32 v30, v[0:1]
	s_delay_alu instid0(VALU_DEP_2) | instskip(NEXT) | instid1(VALU_DEP_1)
	v_fmamk_f64 v[2:3], v[0:1], 0xbc7abc9e3b39803f, v[2:3]
	v_fmaak_f64 v[4:5], s[6:7], v[2:3], 0x3e928af3fca7ab0c
	s_mov_b64 s[6:7], 0xbde639692e6d26f8
	s_delay_alu instid0(SALU_CYCLE_1) | instskip(NEXT) | instid1(VALU_DEP_2)
	v_fmaak_f64 v[6:7], s[6:7], v[34:35], 0x3e20dad1a9d197ff
	v_fmaak_f64 v[4:5], v[2:3], v[4:5], 0x3ec71dee623fde64
	s_delay_alu instid0(VALU_DEP_2) | instskip(NEXT) | instid1(VALU_DEP_2)
	v_fmaak_f64 v[6:7], v[34:35], v[6:7], 0xbe5700d50c75966b
	v_fmaak_f64 v[4:5], v[2:3], v[4:5], 0x3efa01997c89e6b0
	s_delay_alu instid0(VALU_DEP_1) | instskip(NEXT) | instid1(VALU_DEP_1)
	v_fmaak_f64 v[4:5], v[2:3], v[4:5], 0x3f2a01a014761f6e
	v_fmaak_f64 v[4:5], v[2:3], v[4:5], 0x3f56c16c1852b7b0
	s_delay_alu instid0(VALU_DEP_1) | instskip(NEXT) | instid1(VALU_DEP_1)
	;; [unrolled: 3-line block ×4, first 2 shown]
	v_fma_f64 v[4:5], v[2:3], v[4:5], 1.0
	v_fma_f64 v[0:1], v[2:3], v[4:5], 1.0
	v_fmaak_f64 v[2:3], v[34:35], v[6:7], 0x3e8d278109166491
	s_delay_alu instid0(VALU_DEP_1) | instskip(NEXT) | instid1(VALU_DEP_1)
	v_fmaak_f64 v[2:3], v[34:35], v[2:3], 0xbec0ae4660b81f04
	v_fmaak_f64 v[2:3], v[34:35], v[2:3], 0x3ef1082dcc2ea1d8
	s_delay_alu instid0(VALU_DEP_1) | instskip(NEXT) | instid1(VALU_DEP_1)
	v_fmaak_f64 v[2:3], v[34:35], v[2:3], 0xbf1e9a4f0c7fe5e0
	v_fmaak_f64 v[2:3], v[34:35], v[2:3], 0x3f47c0ceb2de1fa1
	v_ldexp_f64 v[0:1], v[0:1], v30
	v_add_f64_e32 v[6:7], v[14:15], v[14:15]
	s_delay_alu instid0(VALU_DEP_3) | instskip(NEXT) | instid1(VALU_DEP_1)
	v_fmaak_f64 v[2:3], v[34:35], v[2:3], 0xbf6f167b71a03f85
	v_fmaak_f64 v[2:3], v[34:35], v[2:3], 0x3f908f7bf5ec8499
	s_delay_alu instid0(VALU_DEP_1) | instskip(NEXT) | instid1(VALU_DEP_1)
	v_fmaak_f64 v[2:3], v[34:35], v[2:3], 0xbfab1b52148817a2
	v_fmaak_f64 v[2:3], v[34:35], v[2:3], 0x3fbd9ea87ada65b7
	v_dual_cndmask_b32 v5, 0, v1 :: v_dual_cndmask_b32 v4, 0, v0
	s_delay_alu instid0(VALU_DEP_1) | instskip(NEXT) | instid1(VALU_DEP_1)
	v_fmac_f64_e32 v[4:5], v[6:7], v[2:3]
	v_add_f64_e64 v[0:1], v[4:5], -v[2:3]
	s_delay_alu instid0(VALU_DEP_1) | instskip(NEXT) | instid1(VALU_DEP_1)
	v_div_scale_f64 v[6:7], null, v[0:1], v[0:1], v[2:3]
	v_rcp_f64_e32 v[14:15], v[6:7]
	v_nop
	s_delay_alu instid0(TRANS32_DEP_1) | instskip(NEXT) | instid1(VALU_DEP_1)
	v_fma_f64 v[30:31], -v[6:7], v[14:15], 1.0
	v_fmac_f64_e32 v[14:15], v[14:15], v[30:31]
	s_delay_alu instid0(VALU_DEP_1) | instskip(NEXT) | instid1(VALU_DEP_1)
	v_fma_f64 v[30:31], -v[6:7], v[14:15], 1.0
	v_fmac_f64_e32 v[14:15], v[14:15], v[30:31]
	v_div_scale_f64 v[30:31], vcc_lo, v[2:3], v[0:1], v[2:3]
	s_delay_alu instid0(VALU_DEP_1) | instskip(NEXT) | instid1(VALU_DEP_1)
	v_mul_f64_e32 v[34:35], v[30:31], v[14:15]
	v_fma_f64 v[6:7], -v[6:7], v[34:35], v[30:31]
	s_delay_alu instid0(VALU_DEP_1) | instskip(NEXT) | instid1(VALU_DEP_1)
	v_div_fmas_f64 v[6:7], v[6:7], v[14:15], v[34:35]
	v_div_fixup_f64 v[0:1], v[6:7], v[0:1], v[2:3]
.LBB0_186:
	s_or_b32 exec_lo, exec_lo, s5
	v_mov_b64_e32 v[30:31], 0
	v_mov_b64_e32 v[6:7], 0
	v_mov_b64_e32 v[2:3], 0
.LBB0_187:
	s_or_b32 exec_lo, exec_lo, s1
	s_delay_alu instid0(SALU_CYCLE_1)
	s_or_b32 exec_lo, exec_lo, s0
                                        ; implicit-def: $vgpr14_vgpr15
.LBB0_188:
	s_and_not1_saveexec_b32 s0, s4
	s_cbranch_execz .LBB0_300
.LBB0_189:
	scratch_load_b32 v0, off, s33 offset:744 ; 4-byte Folded Reload
                                        ; implicit-def: $vgpr18_vgpr19
                                        ; implicit-def: $vgpr30_vgpr31
                                        ; implicit-def: $vgpr4_vgpr5
                                        ; implicit-def: $vgpr6_vgpr7
                                        ; implicit-def: $vgpr2_vgpr3
	s_wait_loadcnt 0x0
	v_cmp_lt_i32_e32 vcc_lo, 0, v0
                                        ; implicit-def: $vgpr0_vgpr1
	s_wait_xcnt 0x0
	s_and_saveexec_b32 s1, vcc_lo
	s_delay_alu instid0(SALU_CYCLE_1)
	s_xor_b32 s1, exec_lo, s1
	s_cbranch_execz .LBB0_197
; %bb.190:
	scratch_load_b32 v0, off, s33 offset:744 ; 4-byte Folded Reload
                                        ; implicit-def: $vgpr18_vgpr19
                                        ; implicit-def: $vgpr30_vgpr31
                                        ; implicit-def: $vgpr4_vgpr5
                                        ; implicit-def: $vgpr6_vgpr7
                                        ; implicit-def: $vgpr2_vgpr3
	s_wait_loadcnt 0x0
	v_cmp_lt_i32_e32 vcc_lo, 1, v0
                                        ; implicit-def: $vgpr0_vgpr1
	s_wait_xcnt 0x0
	s_and_saveexec_b32 s4, vcc_lo
	s_delay_alu instid0(SALU_CYCLE_1)
	s_xor_b32 s4, exec_lo, s4
	s_cbranch_execz .LBB0_194
; %bb.191:
	scratch_load_b32 v34, off, s33 offset:744 ; 4-byte Folded Reload
	v_mov_b64_e32 v[18:19], 0
	v_mov_b64_e32 v[30:31], 0
	;; [unrolled: 1-line block ×6, first 2 shown]
	s_mov_b32 s5, exec_lo
	s_wait_loadcnt 0x0
	v_cmpx_eq_u32_e32 2, v34
	s_cbranch_execz .LBB0_193
; %bb.192:
	v_mul_f64_e32 v[18:19], 0xbff71547652b82fe, v[14:15]
	s_mov_b64 s[6:7], 0xbe0187a64c050a83
	v_cmp_nlt_f64_e32 vcc_lo, 0x4090cc00, v[14:15]
	v_fmaak_f64 v[0:1], s[6:7], v[14:15], 0x3e59c8c3ba084876
	s_mov_b64 s[6:7], 0xbe4bd764a133a864
	s_delay_alu instid0(SALU_CYCLE_1) | instskip(SKIP_1) | instid1(SALU_CYCLE_1)
	v_fmaak_f64 v[2:3], s[6:7], v[14:15], 0x3e74cb06c3c042fd
	s_mov_b64 s[6:7], 0xbe43f0aeed1b5c22
	v_fmaak_f64 v[4:5], s[6:7], v[14:15], 0xbe9451d42fc798c4
	s_mov_b64 s[6:7], 0xbe746cf1a4869262
	s_delay_alu instid0(VALU_DEP_3) | instskip(NEXT) | instid1(VALU_DEP_3)
	v_fmaak_f64 v[0:1], v[14:15], v[0:1], 0xbea0d040e61e163f
	v_fmaak_f64 v[2:3], v[14:15], v[2:3], 0x3eba2d20f35f5185
	s_delay_alu instid0(VALU_DEP_3) | instskip(NEXT) | instid1(VALU_DEP_3)
	v_fmaak_f64 v[4:5], v[14:15], v[4:5], 0xbec5087b5d760579
	v_fmaak_f64 v[0:1], v[14:15], v[0:1], 0x3edfce1736d0827f
	;; [unrolled: 3-line block ×5, first 2 shown]
	v_rndne_f64_e32 v[18:19], v[18:19]
	s_delay_alu instid0(VALU_DEP_4) | instskip(NEXT) | instid1(VALU_DEP_4)
	v_fmaak_f64 v[2:3], v[14:15], v[2:3], 0x3f83f3f6e0c1e780
	v_fmaak_f64 v[4:5], v[14:15], v[4:5], 0x3fa954e5e27577c4
	s_delay_alu instid0(VALU_DEP_4) | instskip(NEXT) | instid1(VALU_DEP_3)
	v_fmaak_f64 v[0:1], v[14:15], v[0:1], 0xbf8305fbf2671cbe
	v_fmaak_f64 v[2:3], v[14:15], v[2:3], 0xbfbe984aa6d6b89f
	s_delay_alu instid0(VALU_DEP_3) | instskip(NEXT) | instid1(VALU_DEP_3)
	v_fmaak_f64 v[4:5], v[14:15], v[4:5], 0xbff06696c022abfe
	v_fmaak_f64 v[0:1], v[14:15], v[0:1], 0x3faee9b969e53f1a
	s_delay_alu instid0(VALU_DEP_3) | instskip(NEXT) | instid1(VALU_DEP_3)
	v_fmaak_f64 v[2:3], v[14:15], v[2:3], 0x3fe8dbbca78fc4a5
	v_fmaak_f64 v[6:7], v[14:15], v[4:5], 0x401aa6b4f83a3c3e
	;; [unrolled: 1-line block ×3, first 2 shown]
	s_mov_b64 s[6:7], 0xbfe62e42fefa39ef
	s_delay_alu instid0(VALU_DEP_1) | instskip(SKIP_2) | instid1(VALU_DEP_2)
	v_fmaak_f64 v[4:5], v[14:15], v[4:5], 0xbee5b2a45d5c507f
	v_fma_f64 v[30:31], v[18:19], s[6:7], -v[14:15]
	s_mov_b64 s[6:7], 0x3e5ade156a5dcb37
	v_fmaak_f64 v[4:5], v[14:15], v[4:5], 0x3f1566436aa26142
	s_delay_alu instid0(VALU_DEP_1) | instskip(NEXT) | instid1(VALU_DEP_1)
	v_fmaak_f64 v[4:5], v[14:15], v[4:5], 0xbf42341857cb7fc3
	v_fmaak_f64 v[4:5], v[14:15], v[4:5], 0x3f6a419ffdce2e7c
	s_delay_alu instid0(VALU_DEP_1) | instskip(NEXT) | instid1(VALU_DEP_1)
	v_fmaak_f64 v[4:5], v[14:15], v[4:5], 0xbf8f07c1c85d43de
	v_fmaak_f64 v[4:5], v[14:15], v[4:5], 0x3fac71c71baa8d81
	v_fmamk_f64 v[30:31], v[18:19], 0xbc7abc9e3b39803f, v[30:31]
	v_cvt_i32_f64_e32 v18, v[18:19]
	s_delay_alu instid0(VALU_DEP_3) | instskip(NEXT) | instid1(VALU_DEP_3)
	v_fmaak_f64 v[4:5], v[14:15], v[4:5], 0xbfc249249247a43d
	v_fmaak_f64 v[34:35], s[6:7], v[30:31], 0x3e928af3fca7ab0c
	s_delay_alu instid0(VALU_DEP_2) | instskip(NEXT) | instid1(VALU_DEP_2)
	v_fmaak_f64 v[4:5], v[14:15], v[4:5], 0x3fc99999999997a1
	v_fmaak_f64 v[34:35], v[30:31], v[34:35], 0x3ec71dee623fde64
	s_delay_alu instid0(VALU_DEP_1) | instskip(NEXT) | instid1(VALU_DEP_1)
	v_fmaak_f64 v[34:35], v[30:31], v[34:35], 0x3efa01997c89e6b0
	v_fmaak_f64 v[34:35], v[30:31], v[34:35], 0x3f2a01a014761f6e
	s_delay_alu instid0(VALU_DEP_1) | instskip(NEXT) | instid1(VALU_DEP_1)
	;; [unrolled: 3-line block ×4, first 2 shown]
	v_fmaak_f64 v[34:35], v[30:31], v[34:35], 0x3fe000000000000b
	v_fma_f64 v[34:35], v[30:31], v[34:35], 1.0
	s_delay_alu instid0(VALU_DEP_1) | instskip(NEXT) | instid1(VALU_DEP_1)
	v_fma_f64 v[30:31], v[30:31], v[34:35], 1.0
	v_ldexp_f64 v[18:19], v[30:31], v18
	s_delay_alu instid0(VALU_DEP_1) | instskip(SKIP_1) | instid1(VALU_DEP_1)
	v_dual_cndmask_b32 v35, 0, v19 :: v_dual_cndmask_b32 v34, 0, v18
	v_add_f64_e32 v[18:19], v[14:15], v[14:15]
	v_fma_f64 v[14:15], v[18:19], v[4:5], v[34:35]
	s_delay_alu instid0(VALU_DEP_1) | instskip(NEXT) | instid1(VALU_DEP_1)
	v_div_scale_f64 v[30:31], null, 0x40080000, 0x40080000, v[14:15]
	v_rcp_f64_e32 v[48:49], v[30:31]
	v_nop
	s_delay_alu instid0(TRANS32_DEP_1) | instskip(NEXT) | instid1(VALU_DEP_1)
	v_fma_f64 v[50:51], -v[30:31], v[48:49], 1.0
	v_fmac_f64_e32 v[48:49], v[48:49], v[50:51]
	s_delay_alu instid0(VALU_DEP_1) | instskip(NEXT) | instid1(VALU_DEP_1)
	v_fma_f64 v[50:51], -v[30:31], v[48:49], 1.0
	v_fmac_f64_e32 v[48:49], v[48:49], v[50:51]
	v_div_scale_f64 v[50:51], vcc_lo, v[14:15], 0x40080000, v[14:15]
	s_delay_alu instid0(VALU_DEP_1) | instskip(NEXT) | instid1(VALU_DEP_1)
	v_mul_f64_e32 v[52:53], v[50:51], v[48:49]
	v_fma_f64 v[30:31], -v[30:31], v[52:53], v[50:51]
	s_delay_alu instid0(VALU_DEP_1) | instskip(NEXT) | instid1(VALU_DEP_1)
	v_div_fmas_f64 v[30:31], v[30:31], v[48:49], v[52:53]
	v_div_fixup_f64 v[14:15], v[30:31], 0x40080000, v[14:15]
	s_delay_alu instid0(VALU_DEP_1) | instskip(SKIP_1) | instid1(VALU_DEP_1)
	v_fmac_f64_e32 v[34:35], v[18:19], v[14:15]
	v_add_f64_e32 v[18:19], 1.0, v[0:1]
	v_div_scale_f64 v[30:31], null, v[18:19], v[18:19], v[0:1]
	s_delay_alu instid0(VALU_DEP_1) | instskip(SKIP_1) | instid1(TRANS32_DEP_1)
	v_rcp_f64_e32 v[48:49], v[30:31]
	v_nop
	v_fma_f64 v[50:51], -v[30:31], v[48:49], 1.0
	s_delay_alu instid0(VALU_DEP_1) | instskip(NEXT) | instid1(VALU_DEP_1)
	v_fmac_f64_e32 v[48:49], v[48:49], v[50:51]
	v_fma_f64 v[50:51], -v[30:31], v[48:49], 1.0
	s_delay_alu instid0(VALU_DEP_1) | instskip(SKIP_1) | instid1(VALU_DEP_1)
	v_fmac_f64_e32 v[48:49], v[48:49], v[50:51]
	v_div_scale_f64 v[50:51], vcc_lo, v[0:1], v[18:19], v[0:1]
	v_mul_f64_e32 v[52:53], v[50:51], v[48:49]
	s_delay_alu instid0(VALU_DEP_1) | instskip(NEXT) | instid1(VALU_DEP_1)
	v_fma_f64 v[30:31], -v[30:31], v[52:53], v[50:51]
	v_div_fmas_f64 v[30:31], v[30:31], v[48:49], v[52:53]
	s_delay_alu instid0(VALU_DEP_1) | instskip(SKIP_1) | instid1(VALU_DEP_2)
	v_div_fixup_f64 v[30:31], v[30:31], v[18:19], v[0:1]
	v_add_f64_e32 v[18:19], 1.0, v[2:3]
	v_fma_f64 v[4:5], -v[30:31], v[14:15], v[4:5]
	s_delay_alu instid0(VALU_DEP_2) | instskip(SKIP_1) | instid1(VALU_DEP_2)
	v_div_scale_f64 v[48:49], null, v[18:19], v[18:19], v[2:3]
	v_fma_f64 v[14:15], -v[30:31], v[34:35], v[14:15]
	v_rcp_f64_e32 v[50:51], v[48:49]
	v_nop
	s_delay_alu instid0(TRANS32_DEP_1) | instskip(NEXT) | instid1(VALU_DEP_1)
	v_fma_f64 v[52:53], -v[48:49], v[50:51], 1.0
	v_fmac_f64_e32 v[50:51], v[50:51], v[52:53]
	s_delay_alu instid0(VALU_DEP_1) | instskip(NEXT) | instid1(VALU_DEP_1)
	v_fma_f64 v[52:53], -v[48:49], v[50:51], 1.0
	v_fmac_f64_e32 v[50:51], v[50:51], v[52:53]
	v_div_scale_f64 v[52:53], vcc_lo, v[2:3], v[18:19], v[2:3]
	s_delay_alu instid0(VALU_DEP_1) | instskip(NEXT) | instid1(VALU_DEP_1)
	v_mul_f64_e32 v[54:55], v[52:53], v[50:51]
	v_fma_f64 v[48:49], -v[48:49], v[54:55], v[52:53]
	s_delay_alu instid0(VALU_DEP_1) | instskip(NEXT) | instid1(VALU_DEP_1)
	v_div_fmas_f64 v[48:49], v[48:49], v[50:51], v[54:55]
	v_div_fixup_f64 v[48:49], v[48:49], v[18:19], v[2:3]
	v_add_f64_e32 v[18:19], 1.0, v[6:7]
	s_delay_alu instid0(VALU_DEP_1) | instskip(NEXT) | instid1(VALU_DEP_1)
	v_div_scale_f64 v[50:51], null, v[18:19], v[18:19], v[6:7]
	v_rcp_f64_e32 v[52:53], v[50:51]
	v_nop
	s_delay_alu instid0(TRANS32_DEP_1) | instskip(NEXT) | instid1(VALU_DEP_1)
	v_fma_f64 v[54:55], -v[50:51], v[52:53], 1.0
	v_fmac_f64_e32 v[52:53], v[52:53], v[54:55]
	s_delay_alu instid0(VALU_DEP_1) | instskip(NEXT) | instid1(VALU_DEP_1)
	v_fma_f64 v[54:55], -v[50:51], v[52:53], 1.0
	v_fmac_f64_e32 v[52:53], v[52:53], v[54:55]
	v_div_scale_f64 v[54:55], vcc_lo, v[6:7], v[18:19], v[6:7]
	s_delay_alu instid0(VALU_DEP_1) | instskip(NEXT) | instid1(VALU_DEP_1)
	v_mul_f64_e32 v[98:99], v[54:55], v[52:53]
	v_fma_f64 v[50:51], -v[50:51], v[98:99], v[54:55]
	s_delay_alu instid0(VALU_DEP_1) | instskip(NEXT) | instid1(VALU_DEP_1)
	v_div_fmas_f64 v[50:51], v[50:51], v[52:53], v[98:99]
	v_div_fixup_f64 v[50:51], v[50:51], v[18:19], v[6:7]
	v_fma_f64 v[18:19], -v[48:49], v[14:15], v[4:5]
	s_delay_alu instid0(VALU_DEP_2) | instskip(SKIP_3) | instid1(VALU_DEP_3)
	v_add_f64_e64 v[52:53], v[50:51], -v[48:49]
	v_add_f64_e64 v[54:55], v[50:51], -v[30:31]
	v_fma_f64 v[4:5], v[50:51], v[14:15], -v[4:5]
	v_add_f64_e64 v[14:15], v[48:49], -v[30:31]
	v_mul_f64_e32 v[54:55], v[52:53], v[54:55]
	s_delay_alu instid0(VALU_DEP_2) | instskip(NEXT) | instid1(VALU_DEP_2)
	v_mul_f64_e32 v[14:15], v[52:53], v[14:15]
	v_div_scale_f64 v[98:99], null, v[54:55], v[54:55], v[18:19]
	s_delay_alu instid0(VALU_DEP_2) | instskip(NEXT) | instid1(VALU_DEP_2)
	v_div_scale_f64 v[30:31], null, v[14:15], v[14:15], v[4:5]
	v_rcp_f64_e32 v[100:101], v[98:99]
	s_delay_alu instid0(VALU_DEP_1) | instskip(NEXT) | instid1(TRANS32_DEP_2)
	v_rcp_f64_e32 v[48:49], v[30:31]
	v_fma_f64 v[102:103], -v[98:99], v[100:101], 1.0
	s_delay_alu instid0(TRANS32_DEP_1) | instskip(NEXT) | instid1(VALU_DEP_2)
	v_fma_f64 v[50:51], -v[30:31], v[48:49], 1.0
	v_fmac_f64_e32 v[100:101], v[100:101], v[102:103]
	s_delay_alu instid0(VALU_DEP_2) | instskip(NEXT) | instid1(VALU_DEP_2)
	v_fmac_f64_e32 v[48:49], v[48:49], v[50:51]
	v_fma_f64 v[102:103], -v[98:99], v[100:101], 1.0
	s_delay_alu instid0(VALU_DEP_2) | instskip(NEXT) | instid1(VALU_DEP_2)
	v_fma_f64 v[50:51], -v[30:31], v[48:49], 1.0
	v_fmac_f64_e32 v[100:101], v[100:101], v[102:103]
	v_div_scale_f64 v[102:103], vcc_lo, v[18:19], v[54:55], v[18:19]
	s_delay_alu instid0(VALU_DEP_3) | instskip(NEXT) | instid1(VALU_DEP_2)
	v_fmac_f64_e32 v[48:49], v[48:49], v[50:51]
	v_mul_f64_e32 v[112:113], v[102:103], v[100:101]
	s_delay_alu instid0(VALU_DEP_1) | instskip(NEXT) | instid1(VALU_DEP_1)
	v_fma_f64 v[98:99], -v[98:99], v[112:113], v[102:103]
	v_div_fmas_f64 v[98:99], v[98:99], v[100:101], v[112:113]
	v_div_scale_f64 v[50:51], vcc_lo, v[4:5], v[14:15], v[4:5]
	s_delay_alu instid0(VALU_DEP_2) | instskip(NEXT) | instid1(VALU_DEP_2)
	v_div_fixup_f64 v[18:19], v[98:99], v[54:55], v[18:19]
	v_mul_f64_e32 v[52:53], v[50:51], v[48:49]
	s_delay_alu instid0(VALU_DEP_1) | instskip(NEXT) | instid1(VALU_DEP_1)
	v_fma_f64 v[30:31], -v[30:31], v[52:53], v[50:51]
	v_div_fmas_f64 v[30:31], v[30:31], v[48:49], v[52:53]
	s_delay_alu instid0(VALU_DEP_1) | instskip(NEXT) | instid1(VALU_DEP_1)
	v_div_fixup_f64 v[30:31], v[30:31], v[14:15], v[4:5]
	v_add_f64_e64 v[4:5], v[34:35], -v[30:31]
	s_delay_alu instid0(VALU_DEP_1)
	v_add_f64_e64 v[4:5], v[4:5], -v[18:19]
.LBB0_193:
	s_or_b32 exec_lo, exec_lo, s5
                                        ; implicit-def: $vgpr14_vgpr15
.LBB0_194:
	s_and_not1_saveexec_b32 s4, s4
	s_cbranch_execz .LBB0_196
; %bb.195:
	v_mul_f64_e32 v[0:1], 0xbff71547652b82fe, v[14:15]
	s_mov_b64 s[6:7], 0xbfe62e42fefa39ef
	v_cmp_nlt_f64_e32 vcc_lo, 0x4090cc00, v[14:15]
	s_mov_b64 s[8:9], 0xbe2434dbb5854706
	s_delay_alu instid0(VALU_DEP_2) | instskip(NEXT) | instid1(VALU_DEP_1)
	v_rndne_f64_e32 v[0:1], v[0:1]
	v_fma_f64 v[2:3], v[0:1], s[6:7], -v[14:15]
	s_mov_b64 s[6:7], 0x3e5ade156a5dcb37
	v_cvt_i32_f64_e32 v6, v[0:1]
	s_delay_alu instid0(VALU_DEP_2) | instskip(NEXT) | instid1(VALU_DEP_1)
	v_fmamk_f64 v[2:3], v[0:1], 0xbc7abc9e3b39803f, v[2:3]
	v_fmaak_f64 v[4:5], s[6:7], v[2:3], 0x3e928af3fca7ab0c
	s_mov_b64 s[6:7], 0xbe76731b00f2e07f
	s_delay_alu instid0(VALU_DEP_1) | instskip(NEXT) | instid1(VALU_DEP_1)
	v_fmaak_f64 v[4:5], v[2:3], v[4:5], 0x3ec71dee623fde64
	v_fmaak_f64 v[4:5], v[2:3], v[4:5], 0x3efa01997c89e6b0
	s_delay_alu instid0(VALU_DEP_1) | instskip(NEXT) | instid1(VALU_DEP_1)
	v_fmaak_f64 v[4:5], v[2:3], v[4:5], 0x3f2a01a014761f6e
	v_fmaak_f64 v[4:5], v[2:3], v[4:5], 0x3f56c16c1852b7b0
	s_delay_alu instid0(VALU_DEP_1) | instskip(NEXT) | instid1(VALU_DEP_1)
	v_fmaak_f64 v[4:5], v[2:3], v[4:5], 0x3f81111111122322
	v_fmaak_f64 v[4:5], v[2:3], v[4:5], 0x3fa55555555502a1
	s_delay_alu instid0(VALU_DEP_1) | instskip(NEXT) | instid1(VALU_DEP_1)
	v_fmaak_f64 v[4:5], v[2:3], v[4:5], 0x3fc5555555555511
	v_fmaak_f64 v[4:5], v[2:3], v[4:5], 0x3fe000000000000b
	s_delay_alu instid0(VALU_DEP_1) | instskip(NEXT) | instid1(VALU_DEP_1)
	v_fma_f64 v[4:5], v[2:3], v[4:5], 1.0
	v_fma_f64 v[0:1], v[2:3], v[4:5], 1.0
	v_fmaak_f64 v[2:3], s[6:7], v[14:15], 0x3eb456789f017ad7
	s_mov_b64 s[6:7], 0xbe5a909d3a602ec4
	s_delay_alu instid0(VALU_DEP_1) | instskip(NEXT) | instid1(VALU_DEP_1)
	v_fmaak_f64 v[2:3], v[14:15], v[2:3], 0xbee84196cb5eca91
	v_fmaak_f64 v[2:3], v[14:15], v[2:3], 0x3f1840e4fc817ba3
	s_delay_alu instid0(VALU_DEP_1) | instskip(NEXT) | instid1(VALU_DEP_1)
	v_fmaak_f64 v[2:3], v[14:15], v[2:3], 0xbf45010c605c6322
	v_fmaak_f64 v[2:3], v[14:15], v[2:3], 0x3f6f07bd7574e5b9
	v_ldexp_f64 v[0:1], v[0:1], v6
	v_add_f64_e32 v[4:5], v[14:15], v[14:15]
	s_delay_alu instid0(VALU_DEP_3) | instskip(NEXT) | instid1(VALU_DEP_1)
	v_fmaak_f64 v[2:3], v[14:15], v[2:3], 0xbf92f684a7c3ec5a
	v_fmaak_f64 v[2:3], v[14:15], v[2:3], 0x3fb2492491dc9122
	s_delay_alu instid0(VALU_DEP_1) | instskip(NEXT) | instid1(VALU_DEP_1)
	v_fmaak_f64 v[2:3], v[14:15], v[2:3], 0xbfc999999997f6a0
	v_fmaak_f64 v[6:7], v[14:15], v[2:3], 0x3fd5555555555441
	;; [unrolled: 1-line block ×3, first 2 shown]
	v_dual_cndmask_b32 v19, 0, v1 :: v_dual_cndmask_b32 v18, 0, v0
	v_fmaak_f64 v[0:1], s[6:7], v[14:15], 0x3e8fc8ba00a614b3
	s_delay_alu instid0(VALU_DEP_3) | instskip(NEXT) | instid1(VALU_DEP_2)
	v_fmaak_f64 v[2:3], v[14:15], v[2:3], 0xbe6878e6a38c1acd
	v_fmaak_f64 v[0:1], v[14:15], v[0:1], 0x3ebecad82ad55635
	s_delay_alu instid0(VALU_DEP_2) | instskip(NEXT) | instid1(VALU_DEP_2)
	v_fmaak_f64 v[2:3], v[14:15], v[2:3], 0xbec4876f1c6c69c7
	v_fmaak_f64 v[0:1], v[14:15], v[0:1], 0xbef5aa5463a723e3
	s_delay_alu instid0(VALU_DEP_2) | instskip(NEXT) | instid1(VALU_DEP_2)
	v_fmaak_f64 v[2:3], v[14:15], v[2:3], 0x3f08de570d07bbbb
	v_fmaak_f64 v[0:1], v[14:15], v[0:1], 0xbf21a365d2cf9058
	s_delay_alu instid0(VALU_DEP_2) | instskip(NEXT) | instid1(VALU_DEP_2)
	v_fmaak_f64 v[2:3], v[14:15], v[2:3], 0xbf4178ad87e07b64
	v_fmaak_f64 v[0:1], v[14:15], v[0:1], 0xbf0ed61300b63088
	s_delay_alu instid0(VALU_DEP_2) | instskip(NEXT) | instid1(VALU_DEP_2)
	v_fmaak_f64 v[2:3], v[14:15], v[2:3], 0x3f72368b88f072ba
	v_fmaak_f64 v[0:1], v[14:15], v[0:1], 0x3fab46aa4f02389e
	s_delay_alu instid0(VALU_DEP_2) | instskip(NEXT) | instid1(VALU_DEP_2)
	v_fmaak_f64 v[30:31], v[14:15], v[2:3], 0xbf9dbd74524d242a
	v_fmaak_f64 v[0:1], v[14:15], v[0:1], 0xbfe46769b2c2b91e
	s_delay_alu instid0(VALU_DEP_1) | instskip(NEXT) | instid1(VALU_DEP_3)
	v_fmaak_f64 v[2:3], v[14:15], v[0:1], 0x4006f456e91b528f
	v_fmaak_f64 v[0:1], v[14:15], v[30:31], 0x3fc0ba916e4ad393
	s_delay_alu instid0(VALU_DEP_2) | instskip(SKIP_1) | instid1(VALU_DEP_1)
	v_add_f64_e32 v[14:15], 1.0, v[2:3]
	v_fmac_f64_e32 v[18:19], v[4:5], v[6:7]
	v_add_f64_e64 v[4:5], v[6:7], -v[18:19]
	s_delay_alu instid0(VALU_DEP_1) | instskip(SKIP_1) | instid1(VALU_DEP_2)
	v_fmac_f64_e32 v[6:7], v[0:1], v[4:5]
	v_add_f64_e64 v[4:5], v[2:3], -v[0:1]
	v_mul_f64_e32 v[6:7], v[14:15], v[6:7]
	s_delay_alu instid0(VALU_DEP_1) | instskip(NEXT) | instid1(VALU_DEP_1)
	v_div_scale_f64 v[14:15], null, v[4:5], v[4:5], v[6:7]
	v_rcp_f64_e32 v[30:31], v[14:15]
	v_nop
	s_delay_alu instid0(TRANS32_DEP_1) | instskip(NEXT) | instid1(VALU_DEP_1)
	v_fma_f64 v[34:35], -v[14:15], v[30:31], 1.0
	v_fmac_f64_e32 v[30:31], v[30:31], v[34:35]
	s_delay_alu instid0(VALU_DEP_1) | instskip(NEXT) | instid1(VALU_DEP_1)
	v_fma_f64 v[34:35], -v[14:15], v[30:31], 1.0
	v_fmac_f64_e32 v[30:31], v[30:31], v[34:35]
	v_div_scale_f64 v[34:35], vcc_lo, v[6:7], v[4:5], v[6:7]
	s_delay_alu instid0(VALU_DEP_1) | instskip(NEXT) | instid1(VALU_DEP_1)
	v_mul_f64_e32 v[48:49], v[34:35], v[30:31]
	v_fma_f64 v[14:15], -v[14:15], v[48:49], v[34:35]
	s_delay_alu instid0(VALU_DEP_1) | instskip(NEXT) | instid1(VALU_DEP_1)
	v_div_fmas_f64 v[14:15], v[14:15], v[30:31], v[48:49]
	v_div_fixup_f64 v[30:31], v[14:15], v[4:5], v[6:7]
	v_mov_b64_e32 v[6:7], 0
	s_delay_alu instid0(VALU_DEP_2)
	v_add_f64_e64 v[4:5], v[18:19], -v[30:31]
	v_mov_b64_e32 v[18:19], 0
.LBB0_196:
	s_or_b32 exec_lo, exec_lo, s4
                                        ; implicit-def: $vgpr14_vgpr15
.LBB0_197:
	s_and_not1_saveexec_b32 s1, s1
	s_cbranch_execz .LBB0_201
; %bb.198:
	scratch_load_b32 v2, off, s33 offset:744 ; 4-byte Folded Reload
	v_mov_b64_e32 v[18:19], 0
	v_mov_b64_e32 v[4:5], 0
	;; [unrolled: 1-line block ×3, first 2 shown]
	s_mov_b32 s4, exec_lo
	s_wait_loadcnt 0x0
	v_cmpx_eq_u32_e32 0, v2
	s_cbranch_execz .LBB0_200
; %bb.199:
	v_mul_f64_e32 v[0:1], 0xbff71547652b82fe, v[14:15]
	s_mov_b64 s[6:7], 0xbfe62e42fefa39ef
	v_cmp_nlt_f64_e32 vcc_lo, 0x4090cc00, v[14:15]
	s_delay_alu instid0(VALU_DEP_2) | instskip(NEXT) | instid1(VALU_DEP_1)
	v_rndne_f64_e32 v[0:1], v[0:1]
	v_fma_f64 v[2:3], v[0:1], s[6:7], -v[14:15]
	s_mov_b64 s[6:7], 0x3e5ade156a5dcb37
	v_cvt_i32_f64_e32 v6, v[0:1]
	s_delay_alu instid0(VALU_DEP_2) | instskip(NEXT) | instid1(VALU_DEP_1)
	v_fmamk_f64 v[2:3], v[0:1], 0xbc7abc9e3b39803f, v[2:3]
	v_fmaak_f64 v[4:5], s[6:7], v[2:3], 0x3e928af3fca7ab0c
	s_mov_b64 s[6:7], 0xbe76731b00f2e07f
	s_delay_alu instid0(VALU_DEP_1) | instskip(NEXT) | instid1(VALU_DEP_1)
	v_fmaak_f64 v[4:5], v[2:3], v[4:5], 0x3ec71dee623fde64
	v_fmaak_f64 v[4:5], v[2:3], v[4:5], 0x3efa01997c89e6b0
	s_delay_alu instid0(VALU_DEP_1) | instskip(NEXT) | instid1(VALU_DEP_1)
	v_fmaak_f64 v[4:5], v[2:3], v[4:5], 0x3f2a01a014761f6e
	v_fmaak_f64 v[4:5], v[2:3], v[4:5], 0x3f56c16c1852b7b0
	;; [unrolled: 3-line block ×4, first 2 shown]
	s_delay_alu instid0(VALU_DEP_1) | instskip(NEXT) | instid1(VALU_DEP_1)
	v_fma_f64 v[4:5], v[2:3], v[4:5], 1.0
	v_fma_f64 v[0:1], v[2:3], v[4:5], 1.0
	v_fmaak_f64 v[2:3], s[6:7], v[14:15], 0x3eb456789f017ad7
	s_delay_alu instid0(VALU_DEP_1) | instskip(NEXT) | instid1(VALU_DEP_1)
	v_fmaak_f64 v[2:3], v[14:15], v[2:3], 0xbee84196cb5eca91
	v_fmaak_f64 v[2:3], v[14:15], v[2:3], 0x3f1840e4fc817ba3
	s_delay_alu instid0(VALU_DEP_1) | instskip(NEXT) | instid1(VALU_DEP_1)
	v_fmaak_f64 v[2:3], v[14:15], v[2:3], 0xbf45010c605c6322
	v_fmaak_f64 v[2:3], v[14:15], v[2:3], 0x3f6f07bd7574e5b9
	v_ldexp_f64 v[0:1], v[0:1], v6
	v_add_f64_e32 v[6:7], v[14:15], v[14:15]
	s_delay_alu instid0(VALU_DEP_3) | instskip(NEXT) | instid1(VALU_DEP_1)
	v_fmaak_f64 v[2:3], v[14:15], v[2:3], 0xbf92f684a7c3ec5a
	v_fmaak_f64 v[2:3], v[14:15], v[2:3], 0x3fb2492491dc9122
	s_delay_alu instid0(VALU_DEP_1) | instskip(NEXT) | instid1(VALU_DEP_1)
	v_fmaak_f64 v[2:3], v[14:15], v[2:3], 0xbfc999999997f6a0
	v_fmaak_f64 v[2:3], v[14:15], v[2:3], 0x3fd5555555555441
	v_dual_cndmask_b32 v5, 0, v1 :: v_dual_cndmask_b32 v4, 0, v0
	s_delay_alu instid0(VALU_DEP_1) | instskip(NEXT) | instid1(VALU_DEP_1)
	v_fmac_f64_e32 v[4:5], v[6:7], v[2:3]
	v_add_f64_e64 v[0:1], v[4:5], -v[2:3]
	s_delay_alu instid0(VALU_DEP_1) | instskip(NEXT) | instid1(VALU_DEP_1)
	v_div_scale_f64 v[6:7], null, v[0:1], v[0:1], v[2:3]
	v_rcp_f64_e32 v[14:15], v[6:7]
	v_nop
	s_delay_alu instid0(TRANS32_DEP_1) | instskip(NEXT) | instid1(VALU_DEP_1)
	v_fma_f64 v[30:31], -v[6:7], v[14:15], 1.0
	v_fmac_f64_e32 v[14:15], v[14:15], v[30:31]
	s_delay_alu instid0(VALU_DEP_1) | instskip(NEXT) | instid1(VALU_DEP_1)
	v_fma_f64 v[30:31], -v[6:7], v[14:15], 1.0
	v_fmac_f64_e32 v[14:15], v[14:15], v[30:31]
	v_div_scale_f64 v[30:31], vcc_lo, v[2:3], v[0:1], v[2:3]
	s_delay_alu instid0(VALU_DEP_1) | instskip(NEXT) | instid1(VALU_DEP_1)
	v_mul_f64_e32 v[34:35], v[30:31], v[14:15]
	v_fma_f64 v[6:7], -v[6:7], v[34:35], v[30:31]
	s_delay_alu instid0(VALU_DEP_1) | instskip(NEXT) | instid1(VALU_DEP_1)
	v_div_fmas_f64 v[6:7], v[6:7], v[14:15], v[34:35]
	v_div_fixup_f64 v[0:1], v[6:7], v[0:1], v[2:3]
.LBB0_200:
	s_or_b32 exec_lo, exec_lo, s4
	v_mov_b64_e32 v[30:31], 0
	v_mov_b64_e32 v[6:7], 0
	;; [unrolled: 1-line block ×3, first 2 shown]
.LBB0_201:
	s_or_b32 exec_lo, exec_lo, s1
	s_delay_alu instid0(SALU_CYCLE_1)
	s_or_b32 exec_lo, exec_lo, s0
                                        ; implicit-def: $vgpr14_vgpr15
.LBB0_202:
	s_and_not1_saveexec_b32 s0, s3
	s_cbranch_execz .LBB0_216
.LBB0_203:
	scratch_load_b32 v0, off, s33 offset:744 ; 4-byte Folded Reload
                                        ; implicit-def: $vgpr18_vgpr19
                                        ; implicit-def: $vgpr30_vgpr31
                                        ; implicit-def: $vgpr4_vgpr5
                                        ; implicit-def: $vgpr6_vgpr7
                                        ; implicit-def: $vgpr2_vgpr3
	s_wait_loadcnt 0x0
	v_cmp_lt_i32_e32 vcc_lo, 0, v0
                                        ; implicit-def: $vgpr0_vgpr1
	s_wait_xcnt 0x0
	s_and_saveexec_b32 s1, vcc_lo
	s_delay_alu instid0(SALU_CYCLE_1)
	s_xor_b32 s1, exec_lo, s1
	s_cbranch_execz .LBB0_211
; %bb.204:
	scratch_load_b32 v0, off, s33 offset:744 ; 4-byte Folded Reload
                                        ; implicit-def: $vgpr18_vgpr19
                                        ; implicit-def: $vgpr30_vgpr31
                                        ; implicit-def: $vgpr4_vgpr5
                                        ; implicit-def: $vgpr6_vgpr7
                                        ; implicit-def: $vgpr2_vgpr3
	s_wait_loadcnt 0x0
	v_cmp_lt_i32_e32 vcc_lo, 1, v0
                                        ; implicit-def: $vgpr0_vgpr1
	s_wait_xcnt 0x0
	s_and_saveexec_b32 s3, vcc_lo
	s_delay_alu instid0(SALU_CYCLE_1)
	s_xor_b32 s3, exec_lo, s3
	s_cbranch_execz .LBB0_208
; %bb.205:
	scratch_load_b32 v34, off, s33 offset:744 ; 4-byte Folded Reload
	v_mov_b64_e32 v[18:19], 0
	v_mov_b64_e32 v[30:31], 0
	;; [unrolled: 1-line block ×6, first 2 shown]
	s_mov_b32 s4, exec_lo
	s_wait_loadcnt 0x0
	v_cmpx_eq_u32_e32 2, v34
	s_cbranch_execz .LBB0_207
; %bb.206:
	s_mov_b64 s[6:7], 0xbf8305fbf2659ea3
	s_mov_b64 s[8:9], 0xbfbe984aa6d85c05
	v_fmaak_f64 v[0:1], s[6:7], v[14:15], 0x3faee9b969e53e5f
	v_fmaak_f64 v[2:3], s[8:9], v[14:15], 0x3fe8dbbca78fc4ff
	s_mov_b64 s[6:7], 0xbff06696c024dbf4
	s_mov_b64 s[8:9], 0xbfacebf46927e217
	v_fmaak_f64 v[6:7], s[6:7], v[14:15], 0x401aa6b4f83a3cdb
	v_fmaak_f64 v[4:5], s[8:9], v[14:15], 0x3fddf24d499545e7
	;; [unrolled: 4-line block ×3, first 2 shown]
.LBB0_207:
	s_or_b32 exec_lo, exec_lo, s4
                                        ; implicit-def: $vgpr14_vgpr15
.LBB0_208:
	s_and_not1_saveexec_b32 s3, s3
	s_cbranch_execz .LBB0_210
; %bb.209:
	s_mov_b64 s[4:5], 0xbf9dbd74524bf7a9
	s_mov_b64 s[6:7], 0xbfe46769b2c2e8dd
	v_fmaak_f64 v[0:1], s[4:5], v[14:15], 0x3fc0ba916e4ad393
	v_fmaak_f64 v[2:3], s[6:7], v[14:15], 0x4006f456e91b52bc
	s_mov_b64 s[4:5], 0xbfbf6a28f0f3516e
	s_mov_b64 s[6:7], 0xbfcaf59632302907
	v_fmaak_f64 v[4:5], s[4:5], v[14:15], 0x3fe4de5f840c24c0
	v_fmaak_f64 v[30:31], s[6:7], v[14:15], 0x3fd64340f7e7b65c
	v_mov_b64_e32 v[18:19], 0
	v_mov_b64_e32 v[6:7], 0
.LBB0_210:
	s_or_b32 exec_lo, exec_lo, s3
                                        ; implicit-def: $vgpr14_vgpr15
.LBB0_211:
	s_and_not1_saveexec_b32 s1, s1
	s_cbranch_execz .LBB0_215
; %bb.212:
	scratch_load_b32 v2, off, s33 offset:744 ; 4-byte Folded Reload
	v_mov_b64_e32 v[18:19], 0
	v_mov_b64_e32 v[4:5], 0
	;; [unrolled: 1-line block ×3, first 2 shown]
	s_mov_b32 s3, exec_lo
	s_wait_loadcnt 0x0
	v_cmpx_eq_u32_e32 0, v2
	s_cbranch_execz .LBB0_214
; %bb.213:
	v_div_scale_f64 v[0:1], null, 0xc0140000, 0xc0140000, v[14:15]
	s_delay_alu instid0(VALU_DEP_1) | instskip(SKIP_1) | instid1(TRANS32_DEP_1)
	v_rcp_f64_e32 v[2:3], v[0:1]
	v_nop
	v_fma_f64 v[4:5], -v[0:1], v[2:3], 1.0
	s_delay_alu instid0(VALU_DEP_1) | instskip(NEXT) | instid1(VALU_DEP_1)
	v_fmac_f64_e32 v[2:3], v[2:3], v[4:5]
	v_fma_f64 v[4:5], -v[0:1], v[2:3], 1.0
	s_delay_alu instid0(VALU_DEP_1) | instskip(SKIP_1) | instid1(VALU_DEP_1)
	v_fmac_f64_e32 v[2:3], v[2:3], v[4:5]
	v_div_scale_f64 v[4:5], vcc_lo, v[14:15], 0xc0140000, v[14:15]
	v_mul_f64_e32 v[6:7], v[4:5], v[2:3]
	s_delay_alu instid0(VALU_DEP_1) | instskip(NEXT) | instid1(VALU_DEP_1)
	v_fma_f64 v[0:1], -v[0:1], v[6:7], v[4:5]
	v_div_fmas_f64 v[0:1], v[0:1], v[2:3], v[6:7]
	v_div_scale_f64 v[2:3], null, 0xc0080000, 0xc0080000, v[14:15]
	s_delay_alu instid0(VALU_DEP_2) | instskip(NEXT) | instid1(VALU_DEP_2)
	v_div_fixup_f64 v[0:1], v[0:1], 0xc0140000, v[14:15]
	v_rcp_f64_e32 v[4:5], v[2:3]
	s_delay_alu instid0(VALU_DEP_1) | instskip(NEXT) | instid1(TRANS32_DEP_1)
	v_add_f64_e32 v[0:1], 0.5, v[0:1]
	v_fma_f64 v[6:7], -v[2:3], v[4:5], 1.0
	s_delay_alu instid0(VALU_DEP_1) | instskip(NEXT) | instid1(VALU_DEP_1)
	v_fmac_f64_e32 v[4:5], v[4:5], v[6:7]
	v_fma_f64 v[6:7], -v[2:3], v[4:5], 1.0
	s_delay_alu instid0(VALU_DEP_1) | instskip(SKIP_1) | instid1(VALU_DEP_1)
	v_fmac_f64_e32 v[4:5], v[4:5], v[6:7]
	v_div_scale_f64 v[6:7], vcc_lo, v[14:15], 0xc0080000, v[14:15]
	v_mul_f64_e32 v[30:31], v[6:7], v[4:5]
	s_delay_alu instid0(VALU_DEP_1) | instskip(NEXT) | instid1(VALU_DEP_1)
	v_fma_f64 v[2:3], -v[2:3], v[30:31], v[6:7]
	v_div_fmas_f64 v[2:3], v[2:3], v[4:5], v[30:31]
	s_delay_alu instid0(VALU_DEP_1) | instskip(NEXT) | instid1(VALU_DEP_1)
	v_div_fixup_f64 v[2:3], v[2:3], 0xc0080000, v[14:15]
	v_add_f64_e32 v[4:5], 1.0, v[2:3]
.LBB0_214:
	s_or_b32 exec_lo, exec_lo, s3
	v_mov_b64_e32 v[30:31], 0
	v_mov_b64_e32 v[6:7], 0
	;; [unrolled: 1-line block ×3, first 2 shown]
.LBB0_215:
	s_or_b32 exec_lo, exec_lo, s1
.LBB0_216:
	s_delay_alu instid0(SALU_CYCLE_1) | instskip(NEXT) | instid1(SALU_CYCLE_1)
	s_or_b32 exec_lo, exec_lo, s0
	s_mov_b32 s0, exec_lo
	s_clause 0x1
	scratch_store_b64 off, v[0:1], s33 offset:192
	scratch_store_b64 off, v[4:5], s33 offset:256
	s_wait_xcnt 0x0
	v_cmpx_lt_i32_e32 1, v56
	s_cbranch_execz .LBB0_218
; %bb.217:
	s_clause 0x1
	scratch_store_b64 off, v[2:3], s33 offset:200
	scratch_store_b64 off, v[30:31], s33 offset:264
.LBB0_218:
	s_wait_xcnt 0x0
	s_or_b32 exec_lo, exec_lo, s0
	s_delay_alu instid0(SALU_CYCLE_1)
	s_mov_b32 s0, exec_lo
	v_cmpx_lt_i32_e32 3, v56
	s_cbranch_execz .LBB0_220
; %bb.219:
	s_clause 0x1
	scratch_store_b64 off, v[6:7], s33 offset:208
	scratch_store_b64 off, v[18:19], s33 offset:272
.LBB0_220:
	s_wait_xcnt 0x0
	s_or_b32 exec_lo, exec_lo, s0
.LBB0_221:
	s_delay_alu instid0(SALU_CYCLE_1)
	s_or_b32 exec_lo, exec_lo, s2
	v_mov_b64_e32 v[14:15], 0
	s_mov_b32 s1, exec_lo
	v_cmpx_lt_i32_e32 -2, v56
	s_cbranch_execz .LBB0_297
; %bb.222:
	v_mul_f64_e32 v[6:7], v[120:121], v[108:109]
	v_mul_f64_e64 v[4:5], v[104:105], -v[92:93]
	s_clause 0x4
	scratch_store_b64 off, v[96:97], s33 offset:956
	scratch_store_b128 off, v[108:111], s33 offset:924
	scratch_store_b128 off, v[120:123], s33 offset:940
	;; [unrolled: 1-line block ×4, first 2 shown]
	v_add_f64_e64 v[72:73], v[16:17], -v[24:25]
	s_clause 0x1
	scratch_load_b128 v[24:27], off, s33 offset:712 th:TH_LOAD_LU
	scratch_load_b32 v111, off, s33 offset:876
	v_div_scale_f64 v[2:3], null, v[64:65], v[64:65], 0.5
	v_div_scale_f64 v[14:15], null, v[66:67], v[66:67], 0.5
                                        ; implicit-def: $vgpr125 : SGPR spill to VGPR lane
	v_add_f64_e64 v[56:57], v[20:21], -v[36:37]
	v_writelane_b32 v125, s1, 0
	v_div_scale_f64 v[112:113], s1, 0.5, v[66:67], 0.5
	s_wait_xcnt 0x3
	v_add_f64_e64 v[94:95], v[12:13], -v[28:29]
	s_wait_xcnt 0x2
	v_mov_b64_e32 v[104:105], 0x3e928af3fca7ab0c
	v_add_f64_e64 v[96:97], v[82:83], -v[8:9]
	v_cmp_lt_i32_e64 s55, -1, v41
	v_cmp_lt_i32_e64 s87, -1, v42
	v_cmp_lt_i32_e64 s101, -1, v43
	s_mov_b32 s86, 0
	s_wait_xcnt 0x0
	s_mov_b64 s[102:103], 0x3fe5555555555555
	s_mov_b64 s[64:65], 0x3fe62e42fefa39ef
	s_mov_b32 s54, 0
	s_get_pc_i64 s[68:69]
	s_add_nc_u64 s[68:69], s[68:69], _Z13cuda_binomialii@rel64+4
	v_dual_add_nc_u32 v120, v42, v117 :: v_dual_add_nc_u32 v124, v41, v119
	v_dual_add_nc_u32 v123, v46, v118 :: v_dual_add_nc_u32 v122, v43, v116
	v_add_nc_u32_e32 v121, v45, v58
	v_div_scale_f64 v[0:1], null, v[66:67], v[66:67], v[6:7]
	v_div_scale_f64 v[18:19], null, v[64:65], v[64:65], v[4:5]
	v_div_scale_f64 v[102:103], vcc_lo, v[6:7], v[66:67], v[6:7]
	v_cmp_lt_i32_e64 s99, 1, v123
	v_rcp_f64_e32 v[34:35], v[2:3]
	v_cmp_lt_i32_e64 s85, 1, v121
	v_rcp_f64_e32 v[48:49], v[14:15]
	v_cmp_eq_f64_e64 s82, 1.0, v[94:95]
	v_rcp_f64_e32 v[30:31], v[0:1]
	v_rcp_f64_e32 v[50:51], v[18:19]
	v_fma_f64 v[54:55], -v[2:3], v[34:35], 1.0
	s_delay_alu instid0(TRANS32_DEP_3) | instskip(NEXT) | instid1(TRANS32_DEP_2)
	v_fma_f64 v[98:99], -v[14:15], v[48:49], 1.0
	v_fma_f64 v[52:53], -v[0:1], v[30:31], 1.0
	s_delay_alu instid0(TRANS32_DEP_1) | instskip(NEXT) | instid1(VALU_DEP_4)
	v_fma_f64 v[100:101], -v[18:19], v[50:51], 1.0
	v_fmac_f64_e32 v[34:35], v[34:35], v[54:55]
	s_delay_alu instid0(VALU_DEP_4) | instskip(NEXT) | instid1(VALU_DEP_4)
	v_fmac_f64_e32 v[48:49], v[48:49], v[98:99]
	v_fmac_f64_e32 v[30:31], v[30:31], v[52:53]
	s_delay_alu instid0(VALU_DEP_4) | instskip(NEXT) | instid1(VALU_DEP_4)
	v_fmac_f64_e32 v[50:51], v[50:51], v[100:101]
	v_fma_f64 v[54:55], -v[2:3], v[34:35], 1.0
	s_delay_alu instid0(VALU_DEP_4) | instskip(NEXT) | instid1(VALU_DEP_4)
	v_fma_f64 v[98:99], -v[14:15], v[48:49], 1.0
	v_fma_f64 v[52:53], -v[0:1], v[30:31], 1.0
	s_delay_alu instid0(VALU_DEP_4) | instskip(NEXT) | instid1(VALU_DEP_4)
	v_fma_f64 v[100:101], -v[18:19], v[50:51], 1.0
	v_fmac_f64_e32 v[34:35], v[34:35], v[54:55]
	v_div_scale_f64 v[54:55], s2, v[4:5], v[64:65], v[4:5]
	v_fmac_f64_e32 v[48:49], v[48:49], v[98:99]
	v_fmac_f64_e32 v[30:31], v[30:31], v[52:53]
	v_div_scale_f64 v[52:53], s0, 0.5, v[64:65], 0.5
	v_fmac_f64_e32 v[50:51], v[50:51], v[100:101]
	s_delay_alu instid0(VALU_DEP_4) | instskip(NEXT) | instid1(VALU_DEP_4)
	v_mul_f64_e32 v[114:115], v[112:113], v[48:49]
	v_mul_f64_e32 v[98:99], v[102:103], v[30:31]
	s_delay_alu instid0(VALU_DEP_4) | instskip(NEXT) | instid1(VALU_DEP_4)
	v_mul_f64_e32 v[100:101], v[52:53], v[34:35]
	v_mul_f64_e32 v[60:61], v[54:55], v[50:51]
	s_delay_alu instid0(VALU_DEP_4) | instskip(NEXT) | instid1(VALU_DEP_4)
	v_fma_f64 v[14:15], -v[14:15], v[114:115], v[112:113]
	v_fma_f64 v[0:1], -v[0:1], v[98:99], v[102:103]
	s_delay_alu instid0(VALU_DEP_4) | instskip(NEXT) | instid1(VALU_DEP_4)
	v_fma_f64 v[2:3], -v[2:3], v[100:101], v[52:53]
	v_fma_f64 v[18:19], -v[18:19], v[60:61], v[54:55]
	s_delay_alu instid0(VALU_DEP_3) | instskip(SKIP_2) | instid1(VALU_DEP_4)
	v_div_fmas_f64 v[30:31], v[0:1], v[30:31], v[98:99]
	s_mov_b32 vcc_lo, s0
	v_add_f64_e64 v[98:99], v[82:83], -v[20:21]
	v_div_fmas_f64 v[0:1], v[2:3], v[34:35], v[100:101]
	s_mov_b32 vcc_lo, s1
	v_add_f64_e64 v[82:83], v[80:81], -v[10:11]
	;; [unrolled: 3-line block ×3, first 2 shown]
	v_div_fmas_f64 v[14:15], v[18:19], v[50:51], v[60:61]
	v_add_f64_e64 v[60:61], v[22:23], -v[38:39]
	v_cmp_gt_f64_e32 vcc_lo, 0x10000000, v[90:91]
	v_add_f64_e64 v[80:81], v[86:87], -v[12:13]
	v_add_f64_e64 v[86:87], v[86:87], -v[16:17]
	s_wait_loadcnt 0x1
	v_add_f64_e64 v[92:93], v[10:11], -v[26:27]
	v_div_fixup_f64 v[6:7], v[30:31], v[66:67], v[6:7]
	s_wait_loadcnt 0x0
	v_dual_add_f64 v[76:77], v[8:9], -v[24:25] :: v_dual_add_nc_u32 v47, v111, v59
	v_div_fixup_f64 v[0:1], v[0:1], v[64:65], 0.5
	scratch_store_b64 off, v[98:99], s33 offset:756 ; 8-byte Folded Spill
	v_mul_f64_e32 v[82:83], v[66:67], v[82:83]
	v_cmp_eq_f64_e64 s83, 1.0, v[72:73]
	v_cmp_lt_i32_e64 s67, 1, v47
	scratch_store_b64 off, v[100:101], s33 offset:764 ; 8-byte Folded Spill
	v_div_fixup_f64 v[4:5], v[14:15], v[64:65], v[4:5]
	v_cmp_eq_f64_e64 s81, 1.0, v[60:61]
	v_mul_f64_e32 v[80:81], v[66:67], v[80:81]
	v_cmp_eq_f64_e64 s80, 1.0, v[92:93]
	v_mul_f64_e32 v[18:19], v[60:61], v[6:7]
	v_mul_f64_e32 v[14:15], v[56:57], v[6:7]
	;; [unrolled: 1-line block ×3, first 2 shown]
	v_cmp_eq_f64_e64 s70, 1.0, v[76:77]
	v_mul_f64_e32 v[26:27], v[92:93], v[4:5]
	v_mul_f64_e32 v[24:25], v[76:77], v[4:5]
	;; [unrolled: 1-line block ×6, first 2 shown]
	s_delay_alu instid0(VALU_DEP_3) | instskip(NEXT) | instid1(VALU_DEP_3)
	v_fma_f64 v[18:19], v[92:93], v[26:27], -v[18:19]
	v_fma_f64 v[14:15], v[76:77], v[24:25], -v[14:15]
	s_delay_alu instid0(VALU_DEP_3) | instskip(SKIP_1) | instid1(VALU_DEP_1)
	v_fma_f64 v[4:5], v[94:95], v[4:5], -v[6:7]
	v_cndmask_b32_e64 v6, 0, 0x100, vcc_lo
	v_ldexp_f64 v[6:7], v[90:91], v6
	v_mov_b64_e32 v[90:91], 0x3fba6564968915a9
	v_mul_f64_e32 v[26:27], 0x3ff71547652b82fe, v[18:19]
	v_mul_f64_e32 v[24:25], 0x3ff71547652b82fe, v[14:15]
	;; [unrolled: 1-line block ×3, first 2 shown]
	v_cmp_nlt_f64_e64 s2, 0x40900000, v[18:19]
	v_cmp_nlt_f64_e64 s0, 0x40900000, v[14:15]
	v_cmp_ngt_f64_e64 s1, 0xc090cc00, v[14:15]
	v_cmp_nlt_f64_e64 s4, 0x40900000, v[4:5]
	v_cmp_ngt_f64_e64 s3, 0xc090cc00, v[18:19]
	v_rsq_f64_e32 v[30:31], v[6:7]
	v_cmp_ngt_f64_e64 s5, 0xc090cc00, v[4:5]
	v_rndne_f64_e32 v[26:27], v[26:27]
	v_rndne_f64_e32 v[24:25], v[24:25]
	;; [unrolled: 1-line block ×3, first 2 shown]
	s_delay_alu instid0(TRANS32_DEP_1) | instskip(SKIP_4) | instid1(VALU_DEP_3)
	v_mul_f64_e32 v[32:33], v[6:7], v[30:31]
	v_mul_f64_e32 v[30:31], 0.5, v[30:31]
	v_fmamk_f64 v[36:37], v[26:27], 0xbfe62e42fefa39ef, v[18:19]
	v_fmamk_f64 v[34:35], v[24:25], 0xbfe62e42fefa39ef, v[14:15]
	;; [unrolled: 1-line block ×3, first 2 shown]
	v_fmac_f64_e32 v[36:37], 0xbc7abc9e3b39803f, v[26:27]
	s_delay_alu instid0(VALU_DEP_3) | instskip(NEXT) | instid1(VALU_DEP_3)
	v_fmac_f64_e32 v[34:35], 0xbc7abc9e3b39803f, v[24:25]
	v_fmac_f64_e32 v[38:39], 0xbc7abc9e3b39803f, v[28:29]
	v_fma_f64 v[48:49], -v[30:31], v[32:33], 0.5
	s_delay_alu instid0(VALU_DEP_4) | instskip(NEXT) | instid1(VALU_DEP_4)
	v_fmamk_f64 v[52:53], v[36:37], 0x3e5ade156a5dcb37, v[104:105]
	v_fmamk_f64 v[50:51], v[34:35], 0x3e5ade156a5dcb37, v[104:105]
	s_delay_alu instid0(VALU_DEP_4) | instskip(NEXT) | instid1(VALU_DEP_3)
	v_fmamk_f64 v[54:55], v[38:39], 0x3e5ade156a5dcb37, v[104:105]
	v_fmaak_f64 v[52:53], v[36:37], v[52:53], 0x3ec71dee623fde64
	v_fmac_f64_e32 v[32:33], v[32:33], v[48:49]
	s_delay_alu instid0(VALU_DEP_4) | instskip(NEXT) | instid1(VALU_DEP_4)
	v_fmaak_f64 v[50:51], v[34:35], v[50:51], 0x3ec71dee623fde64
	v_fmaak_f64 v[54:55], v[38:39], v[54:55], 0x3ec71dee623fde64
	v_fmac_f64_e32 v[30:31], v[30:31], v[48:49]
	v_fmaak_f64 v[52:53], v[36:37], v[52:53], 0x3efa01997c89e6b0
	s_delay_alu instid0(VALU_DEP_4) | instskip(NEXT) | instid1(VALU_DEP_4)
	v_fmaak_f64 v[50:51], v[34:35], v[50:51], 0x3efa01997c89e6b0
	v_fmaak_f64 v[54:55], v[38:39], v[54:55], 0x3efa01997c89e6b0
	s_delay_alu instid0(VALU_DEP_3) | instskip(NEXT) | instid1(VALU_DEP_3)
	v_fmaak_f64 v[52:53], v[36:37], v[52:53], 0x3f2a01a014761f6e
	v_fmaak_f64 v[50:51], v[34:35], v[50:51], 0x3f2a01a014761f6e
	s_delay_alu instid0(VALU_DEP_3) | instskip(NEXT) | instid1(VALU_DEP_3)
	;; [unrolled: 3-line block ×8, first 2 shown]
	v_fmaak_f64 v[54:55], v[38:39], v[54:55], 0x3fc5555555555511
	v_fmaak_f64 v[48:49], v[36:37], v[52:53], 0x3fe000000000000b
	v_fma_f64 v[52:53], -v[32:33], v[32:33], v[6:7]
	s_delay_alu instid0(VALU_DEP_4) | instskip(NEXT) | instid1(VALU_DEP_4)
	v_fmaak_f64 v[50:51], v[34:35], v[50:51], 0x3fe000000000000b
	v_fmaak_f64 v[54:55], v[38:39], v[54:55], 0x3fe000000000000b
	s_delay_alu instid0(VALU_DEP_4) | instskip(NEXT) | instid1(VALU_DEP_3)
	v_fma_f64 v[48:49], v[36:37], v[48:49], 1.0
	v_fma_f64 v[50:51], v[34:35], v[50:51], 1.0
	s_delay_alu instid0(VALU_DEP_3) | instskip(SKIP_2) | instid1(VALU_DEP_4)
	v_fma_f64 v[54:55], v[38:39], v[54:55], 1.0
	v_fmac_f64_e32 v[32:33], v[52:53], v[30:31]
	v_cvt_i32_f64_e32 v52, v[24:25]
	v_fma_f64 v[24:25], v[34:35], v[50:51], 1.0
	v_cvt_i32_f64_e32 v50, v[26:27]
	v_fma_f64 v[26:27], v[36:37], v[48:49], 1.0
	;; [unrolled: 2-line block ×3, first 2 shown]
	v_fma_f64 v[34:35], -v[32:33], v[32:33], v[6:7]
	v_ldexp_f64 v[24:25], v[24:25], v52
	v_ldexp_f64 v[26:27], v[26:27], v50
	s_delay_alu instid0(VALU_DEP_4) | instskip(NEXT) | instid1(VALU_DEP_4)
	v_ldexp_f64 v[28:29], v[28:29], v36
	v_fmac_f64_e32 v[32:33], v[34:35], v[30:31]
	v_cndmask_b32_e64 v30, 0, 0xffffff80, vcc_lo
	v_cmp_class_f64_e64 vcc_lo, v[6:7], 0x260
	v_mul_f64_e32 v[24:25], 0x400921fb54442d18, v[24:25]
	v_mul_f64_e32 v[26:27], 0x400921fb54442d18, v[26:27]
	;; [unrolled: 1-line block ×3, first 2 shown]
	v_ldexp_f64 v[30:31], v[32:33], v30
	s_delay_alu instid0(VALU_DEP_4) | instskip(NEXT) | instid1(VALU_DEP_4)
	v_cndmask_b32_e64 v25, 0x7ff00000, v25, s0
	v_cndmask_b32_e64 v14, 0x7ff00000, v27, s2
	s_delay_alu instid0(VALU_DEP_4) | instskip(NEXT) | instid1(VALU_DEP_2)
	v_cndmask_b32_e64 v18, 0x7ff00000, v29, s4
	v_cndmask_b32_e64 v15, 0, v14, s3
	s_delay_alu instid0(VALU_DEP_2) | instskip(SKIP_2) | instid1(SALU_CYCLE_1)
	v_dual_cndmask_b32 v19, 0, v18, s5 :: v_dual_cndmask_b32 v5, v31, v7, vcc_lo
	v_cndmask_b32_e32 v4, v30, v6, vcc_lo
	s_and_b32 vcc_lo, s1, s0
	v_dual_cndmask_b32 v7, 0, v25, s1 :: v_dual_cndmask_b32 v6, 0, v24, vcc_lo
	s_and_b32 vcc_lo, s3, s2
	v_cmp_lt_i32_e64 s2, 1, v124
	v_cndmask_b32_e32 v14, 0, v26, vcc_lo
	s_and_b32 vcc_lo, s5, s4
	v_div_scale_f64 v[24:25], null, v[4:5], v[4:5], v[6:7]
	v_cndmask_b32_e32 v18, 0, v28, vcc_lo
	s_delay_alu instid0(VALU_DEP_3) | instskip(SKIP_1) | instid1(VALU_DEP_3)
	v_div_scale_f64 v[26:27], null, v[4:5], v[4:5], v[14:15]
	v_div_scale_f64 v[50:51], vcc_lo, v[6:7], v[4:5], v[6:7]
	v_div_scale_f64 v[28:29], null, v[4:5], v[4:5], v[18:19]
	v_cmp_lt_i32_e64 s3, 0, v121
	v_cmp_eq_f64_e64 s71, 1.0, v[56:57]
	v_rcp_f64_e32 v[30:31], v[24:25]
	v_rcp_f64_e32 v[32:33], v[26:27]
	s_delay_alu instid0(VALU_DEP_3) | instskip(NEXT) | instid1(TRANS32_DEP_3)
	v_rcp_f64_e32 v[34:35], v[28:29]
	v_fma_f64 v[36:37], -v[24:25], v[30:31], 1.0
	s_delay_alu instid0(TRANS32_DEP_2) | instskip(NEXT) | instid1(TRANS32_DEP_1)
	v_fma_f64 v[38:39], -v[26:27], v[32:33], 1.0
	v_fma_f64 v[48:49], -v[28:29], v[34:35], 1.0
	s_delay_alu instid0(VALU_DEP_3) | instskip(NEXT) | instid1(VALU_DEP_3)
	v_fmac_f64_e32 v[30:31], v[30:31], v[36:37]
	v_fmac_f64_e32 v[32:33], v[32:33], v[38:39]
	s_delay_alu instid0(VALU_DEP_3) | instskip(NEXT) | instid1(VALU_DEP_3)
	v_fmac_f64_e32 v[34:35], v[34:35], v[48:49]
	v_fma_f64 v[36:37], -v[24:25], v[30:31], 1.0
	s_delay_alu instid0(VALU_DEP_3) | instskip(NEXT) | instid1(VALU_DEP_3)
	v_fma_f64 v[38:39], -v[26:27], v[32:33], 1.0
	v_fma_f64 v[48:49], -v[28:29], v[34:35], 1.0
	s_delay_alu instid0(VALU_DEP_3) | instskip(SKIP_1) | instid1(VALU_DEP_4)
	v_fmac_f64_e32 v[30:31], v[30:31], v[36:37]
	v_div_scale_f64 v[36:37], s0, v[14:15], v[4:5], v[14:15]
	v_fmac_f64_e32 v[32:33], v[32:33], v[38:39]
	v_div_scale_f64 v[38:39], s1, v[18:19], v[4:5], v[18:19]
	v_fmac_f64_e32 v[34:35], v[34:35], v[48:49]
	v_mul_f64_e32 v[48:49], v[50:51], v[30:31]
	s_delay_alu instid0(VALU_DEP_4) | instskip(NEXT) | instid1(VALU_DEP_3)
	v_mul_f64_e32 v[52:53], v[36:37], v[32:33]
	v_mul_f64_e32 v[54:55], v[38:39], v[34:35]
	s_delay_alu instid0(VALU_DEP_3)
	v_fma_f64 v[24:25], -v[24:25], v[48:49], v[50:51]
	v_add_f64_e64 v[50:51], v[84:85], -v[12:13]
	v_add_f64_e64 v[12:13], v[84:85], -v[16:17]
	v_fma_f64 v[26:27], -v[26:27], v[52:53], v[36:37]
	v_add_f64_e64 v[36:37], v[70:71], -v[8:9]
	v_add_f64_e64 v[8:9], v[70:71], -v[20:21]
	v_mul_f64_e32 v[70:71], v[66:67], v[98:99]
	v_fma_f64 v[28:29], -v[28:29], v[54:55], v[38:39]
	v_add_f64_e64 v[38:39], v[68:69], -v[10:11]
	v_add_f64_e64 v[10:11], v[68:69], -v[22:23]
	v_mul_f64_e32 v[68:69], v[66:67], v[96:97]
	v_mul_f64_e32 v[84:85], v[66:67], v[100:101]
	scratch_store_b64 off, v[86:87], s33 offset:772 ; 8-byte Folded Spill
	s_wait_xcnt 0x0
	v_mul_f64_e32 v[86:87], v[66:67], v[86:87]
	v_div_fmas_f64 v[16:17], v[24:25], v[30:31], v[48:49]
	s_mov_b32 vcc_lo, s0
	v_fmac_f64_e32 v[80:81], v[64:65], v[50:51]
	v_div_fmas_f64 v[20:21], v[26:27], v[32:33], v[52:53]
	scratch_store_b64 off, v[36:37], s33 offset:780 ; 8-byte Folded Spill
	s_mov_b32 vcc_lo, s1
	v_fmac_f64_e32 v[70:71], v[64:65], v[8:9]
	v_div_fmas_f64 v[22:23], v[28:29], v[34:35], v[54:55]
	v_fmac_f64_e32 v[82:83], v[64:65], v[38:39]
	s_add_co_i32 s0, s33, 0x178
	v_fmac_f64_e32 v[68:69], v[64:65], v[36:37]
	v_fmac_f64_e32 v[84:85], v[64:65], v[10:11]
	v_writelane_b32 v125, s0, 1
	v_cmp_lt_i32_e64 s0, -1, v111
	v_fmac_f64_e32 v[86:87], v[64:65], v[12:13]
	v_cmp_lt_i32_e64 s1, 0, v47
	s_delay_alu instid0(VALU_DEP_3) | instskip(SKIP_1) | instid1(SALU_CYCLE_1)
	v_writelane_b32 v125, s0, 2
	s_add_co_i32 s0, s33, 0x140
	v_lshl_add_u32 v24, v59, 3, s0
	v_cmp_lt_i32_e64 s0, 0, v124
	v_writelane_b32 v125, s2, 3
	v_cmp_lt_i32_e64 s2, 0, v120
	s_delay_alu instid0(VALU_DEP_3)
	v_writelane_b32 v125, s0, 4
	s_and_b32 s0, s0, s1
	v_div_fixup_f64 v[26:27], v[16:17], v[4:5], v[6:7]
	v_writelane_b32 v125, s1, 5
	v_cmp_lt_i32_e64 s1, 0, v123
	v_writelane_b32 v125, s0, 6
	v_cmp_lt_i32_e64 s0, 1, v120
	s_clause 0x6
	scratch_store_b64 off, v[68:69], s33 offset:804
	scratch_store_b64 off, v[70:71], s33 offset:812
	;; [unrolled: 1-line block ×7, first 2 shown]
	s_wait_xcnt 0x0
	v_div_fixup_f64 v[0:1], v[2:3], v[66:67], 0.5
	v_writelane_b32 v125, s0, 7
	s_and_b32 s0, s2, s3
	v_writelane_b32 v125, s2, 8
	v_cmp_lt_i32_e64 s2, 1, v122
	v_writelane_b32 v125, s3, 9
	v_writelane_b32 v125, s0, 10
	s_add_co_i32 s0, s33, 0x140
	s_clause 0x1
	scratch_store_b64 off, v[26:27], s33 offset:868
	scratch_store_b64 off, v[0:1], s33 offset:860
	s_wait_xcnt 0x0
	v_div_fixup_f64 v[0:1], v[20:21], v[4:5], v[14:15]
	scratch_store_b64 off, v[80:81], s33 offset:836 ; 8-byte Folded Spill
	v_mov_b64_e32 v[14:15], 0
	scratch_store_b64 off, v[0:1], s33 offset:712 ; 8-byte Folded Spill
	s_wait_xcnt 0x0
	v_div_fixup_f64 v[0:1], v[22:23], v[4:5], v[18:19]
	s_clause 0x1
	scratch_store_b64 off, v[86:87], s33 offset:844
	scratch_store_b64 off, v[0:1], s33 offset:728
	s_wait_xcnt 0x0
	v_mad_u32 v0, v119, 56, v24
	scratch_store_b32 off, v0, s33 offset:880 ; 4-byte Folded Spill
	s_wait_xcnt 0x0
	v_lshl_add_u32 v0, v58, 3, s0
	v_cmp_lt_i32_e64 s0, -1, v45
	s_delay_alu instid0(VALU_DEP_2) | instskip(NEXT) | instid1(VALU_DEP_2)
	v_mad_u32 v0, v117, 56, v0
	v_writelane_b32 v125, s0, 11
	v_cmp_lt_i32_e64 s0, 0, v122
	v_writelane_b32 v125, s2, 12
	s_add_co_i32 s2, s33, 0x140
	v_writelane_b32 v125, s0, 13
	s_and_b32 s0, s0, s1
	scratch_store_b32 off, v0, s33 offset:884 ; 4-byte Folded Spill
	s_wait_xcnt 0x0
	v_lshl_add_u32 v0, v118, 3, s2
	v_writelane_b32 v125, s1, 14
	s_delay_alu instid0(VALU_DEP_2) | instskip(SKIP_2) | instid1(VALU_DEP_1)
	v_mad_u32 v0, v116, 56, v0
	v_writelane_b32 v125, s0, 15
	v_cmp_lt_i32_e64 s0, -1, v46
	v_writelane_b32 v125, s0, 16
	s_movk_i32 s0, 0x70
	s_delay_alu instid0(SALU_CYCLE_1) | instskip(SKIP_2) | instid1(SALU_CYCLE_1)
	s_add_co_i32 s1, s33, s0
	scratch_store_b32 off, v0, s33 offset:888 ; 4-byte Folded Spill
	s_add_co_i32 s0, s1, 0x140
                                        ; implicit-def: $vgpr0_vgpr1
                                        ; implicit-def: $vgpr0_vgpr1
	;; [unrolled: 1-line block ×15, first 2 shown]
	v_writelane_b32 v125, s0, 17
	s_add_co_i32 s0, s33, 0x150
	s_delay_alu instid0(SALU_CYCLE_1)
	v_writelane_b32 v125, s0, 18
	s_branch .LBB0_225
.LBB0_223:                              ;   in Loop: Header=BB0_225 Depth=1
	s_or_b32 exec_lo, exec_lo, s96
.LBB0_224:                              ;   in Loop: Header=BB0_225 Depth=1
	s_delay_alu instid0(SALU_CYCLE_1)
	s_or_b32 exec_lo, exec_lo, s84
	s_add_co_i32 s0, s33, s66
	s_clause 0x1
	scratch_load_b64 v[26:27], off, s33 offset:868
	scratch_load_b64 v[14:15], off, s33 offset:736 th:TH_LOAD_LU
	s_addk_co_i32 s0, 0x100
	v_mul_f64_e32 v[2:3], v[58:59], v[106:107]
	scratch_load_b64 v[0:1], off, s0
	v_mul_f64_e32 v[2:3], v[2:3], v[62:63]
	s_wait_loadcnt 0x0
	s_delay_alu instid0(VALU_DEP_1)
	v_fmac_f64_e32 v[14:15], v[2:3], v[0:1]
	scratch_load_b32 v0, off, s33 offset:744 ; 4-byte Folded Reload
	s_wait_loadcnt 0x0
	v_cmp_eq_u32_e32 vcc_lo, s54, v0
	s_add_co_i32 s54, s54, 1
	s_or_b32 s86, vcc_lo, s86
	s_wait_xcnt 0x0
	s_and_not1_b32 exec_lo, exec_lo, s86
	s_cbranch_execz .LBB0_296
.LBB0_225:                              ; =>This Loop Header: Depth=1
                                        ;     Child Loop BB0_231 Depth 2
                                        ;     Child Loop BB0_234 Depth 2
                                        ;     Child Loop BB0_238 Depth 2
                                        ;       Child Loop BB0_240 Depth 3
                                        ;     Child Loop BB0_244 Depth 2
                                        ;       Child Loop BB0_246 Depth 3
                                        ;     Child Loop BB0_255 Depth 2
                                        ;     Child Loop BB0_258 Depth 2
                                        ;     Child Loop BB0_262 Depth 2
                                        ;       Child Loop BB0_264 Depth 3
                                        ;     Child Loop BB0_268 Depth 2
                                        ;       Child Loop BB0_270 Depth 3
	;; [unrolled: 6-line block ×3, first 2 shown]
	s_lshl_b32 s66, s54, 3
	scratch_load_b64 v[20:21], off, s33 offset:748 ; 8-byte Folded Reload
	s_add_co_i32 s0, s33, s66
	s_clause 0x1
	scratch_store_b64 off, v[14:15], s33 offset:736
	scratch_store_b64 off, v[26:27], s33 offset:320
	s_addk_co_i32 s0, 0xc0
	scratch_load_b64 v[0:1], off, s0
	s_wait_loadcnt 0x0
	v_add_f64_e32 v[2:3], 1.0, v[0:1]
	v_mul_f64_e32 v[0:1], 0.5, v[0:1]
	s_delay_alu instid0(VALU_DEP_2) | instskip(NEXT) | instid1(VALU_DEP_2)
	v_div_scale_f64 v[4:5], null, v[2:3], v[2:3], 1.0
	v_div_scale_f64 v[6:7], null, v[20:21], v[20:21], v[0:1]
	v_div_scale_f64 v[16:17], vcc_lo, 1.0, v[2:3], 1.0
	s_delay_alu instid0(VALU_DEP_3) | instskip(NEXT) | instid1(VALU_DEP_2)
	v_rcp_f64_e32 v[8:9], v[4:5]
	v_rcp_f64_e32 v[10:11], v[6:7]
	s_delay_alu instid0(TRANS32_DEP_2) | instskip(SKIP_1) | instid1(TRANS32_DEP_1)
	v_fma_f64 v[12:13], -v[4:5], v[8:9], 1.0
	s_wait_xcnt 0x2
	v_fma_f64 v[14:15], -v[6:7], v[10:11], 1.0
	s_delay_alu instid0(VALU_DEP_2) | instskip(NEXT) | instid1(VALU_DEP_2)
	v_fmac_f64_e32 v[8:9], v[8:9], v[12:13]
	v_fmac_f64_e32 v[10:11], v[10:11], v[14:15]
	s_delay_alu instid0(VALU_DEP_2) | instskip(NEXT) | instid1(VALU_DEP_2)
	v_fma_f64 v[12:13], -v[4:5], v[8:9], 1.0
	v_fma_f64 v[14:15], -v[6:7], v[10:11], 1.0
	s_delay_alu instid0(VALU_DEP_2) | instskip(SKIP_2) | instid1(VALU_DEP_3)
	v_fmac_f64_e32 v[8:9], v[8:9], v[12:13]
	s_wait_xcnt 0x0
	v_div_scale_f64 v[12:13], s0, v[0:1], v[20:21], v[0:1]
	v_fmac_f64_e32 v[10:11], v[10:11], v[14:15]
	s_delay_alu instid0(VALU_DEP_3) | instskip(NEXT) | instid1(VALU_DEP_2)
	v_mul_f64_e32 v[14:15], v[16:17], v[8:9]
	v_mul_f64_e32 v[18:19], v[12:13], v[10:11]
	s_delay_alu instid0(VALU_DEP_2) | instskip(NEXT) | instid1(VALU_DEP_2)
	v_fma_f64 v[4:5], -v[4:5], v[14:15], v[16:17]
	v_fma_f64 v[6:7], -v[6:7], v[18:19], v[12:13]
	s_delay_alu instid0(VALU_DEP_2) | instskip(SKIP_1) | instid1(VALU_DEP_2)
	v_div_fmas_f64 v[4:5], v[4:5], v[8:9], v[14:15]
	s_mov_b32 vcc_lo, s0
	v_div_fmas_f64 v[6:7], v[6:7], v[10:11], v[18:19]
	s_delay_alu instid0(VALU_DEP_2) | instskip(NEXT) | instid1(VALU_DEP_2)
	v_div_fixup_f64 v[88:89], v[4:5], v[2:3], 1.0
	v_div_fixup_f64 v[0:1], v[6:7], v[20:21], v[0:1]
	s_delay_alu instid0(VALU_DEP_1) | instskip(SKIP_3) | instid1(VALU_DEP_1)
	v_mul_f64_e32 v[62:63], v[0:1], v[88:89]
	scratch_load_b64 v[0:1], off, s33 offset:804 ; 8-byte Folded Reload
	s_wait_loadcnt 0x0
	v_mul_f64_e32 v[0:1], v[0:1], v[62:63]
	v_add_f64_e32 v[2:3], v[0:1], v[0:1]
	scratch_load_b64 v[0:1], off, s33 offset:780 ; 8-byte Folded Reload
	s_wait_loadcnt 0x0
	v_fmac_f64_e32 v[2:3], v[0:1], v[88:89]
	s_wait_xcnt 0x0
	s_mov_b32 s0, exec_lo
	v_readlane_b32 s1, v125, 4
	s_and_b32 s1, s0, s1
	s_delay_alu instid0(SALU_CYCLE_1)
	s_mov_b32 exec_lo, s1
	s_cbranch_execz .LBB0_227
; %bb.226:                              ;   in Loop: Header=BB0_225 Depth=1
	v_mul_f64_e32 v[0:1], v[26:27], v[2:3]
	scratch_store_b64 off, v[0:1], s33 offset:376
.LBB0_227:                              ;   in Loop: Header=BB0_225 Depth=1
	s_wait_xcnt 0x0
	s_or_b32 exec_lo, exec_lo, s0
	s_clause 0x1
	scratch_load_b64 v[0:1], off, s33 offset:812
	scratch_load_b64 v[4:5], off, s33 offset:756
	s_wait_loadcnt 0x1
	v_mul_f64_e32 v[0:1], v[0:1], v[62:63]
	s_delay_alu instid0(VALU_DEP_1) | instskip(SKIP_1) | instid1(VALU_DEP_1)
	v_add_f64_e32 v[0:1], v[0:1], v[0:1]
	s_wait_loadcnt 0x0
	v_fmac_f64_e32 v[0:1], v[4:5], v[88:89]
	s_wait_xcnt 0x0
	s_mov_b32 s0, exec_lo
	v_readlane_b32 s1, v125, 5
	s_and_b32 s1, s0, s1
	s_delay_alu instid0(SALU_CYCLE_1)
	s_mov_b32 exec_lo, s1
	s_cbranch_execz .LBB0_229
; %bb.228:                              ;   in Loop: Header=BB0_225 Depth=1
	v_mul_f64_e32 v[4:5], v[26:27], v[0:1]
	scratch_store_b64 off, v[4:5], s33 offset:328
.LBB0_229:                              ;   in Loop: Header=BB0_225 Depth=1
	s_wait_xcnt 0x0
	s_or_b32 exec_lo, exec_lo, s0
	scratch_load_b64 v[4:5], off, s33 offset:852 ; 8-byte Folded Reload
	s_wait_loadcnt 0x0
	v_fma_f64 v[78:79], v[4:5], v[88:89], v[62:63]
	s_wait_xcnt 0x0
	s_mov_b32 s0, exec_lo
	v_readlane_b32 s1, v125, 3
	s_and_b32 s1, s0, s1
	s_delay_alu instid0(SALU_CYCLE_1)
	s_mov_b32 exec_lo, s1
	s_cbranch_execz .LBB0_232
; %bb.230:                              ;   in Loop: Header=BB0_225 Depth=1
	scratch_load_b64 v[4:5], off, s33 offset:376
	v_readlane_b32 s3, v125, 17
	s_mov_b32 s1, 1
	s_mov_b32 s2, 0
.LBB0_231:                              ;   Parent Loop BB0_225 Depth=1
                                        ; =>  This Inner Loop Header: Depth=2
	scratch_load_b64 v[6:7], off, s3 offset:-112
	v_cvt_f64_i32_e32 v[8:9], s1
	s_add_co_i32 s1, s1, 1
	s_delay_alu instid0(SALU_CYCLE_1) | instskip(NEXT) | instid1(VALU_DEP_2)
	v_cmp_eq_u32_e32 vcc_lo, s1, v124
	v_mul_f64_e32 v[8:9], v[78:79], v[8:9]
	s_wait_loadcnt 0x0
	s_delay_alu instid0(VALU_DEP_1) | instskip(NEXT) | instid1(VALU_DEP_1)
	v_mul_f64_e32 v[6:7], v[6:7], v[8:9]
	v_fmac_f64_e32 v[6:7], v[2:3], v[4:5]
	s_delay_alu instid0(VALU_DEP_1) | instskip(SKIP_4) | instid1(SALU_CYCLE_1)
	v_mov_b64_e32 v[4:5], v[6:7]
	scratch_store_b64 off, v[6:7], s3
	s_wait_xcnt 0x0
	s_add_co_i32 s3, s3, 56
	s_or_b32 s2, vcc_lo, s2
	s_and_not1_b32 exec_lo, exec_lo, s2
	s_cbranch_execnz .LBB0_231
.LBB0_232:                              ;   in Loop: Header=BB0_225 Depth=1
	s_or_b32 exec_lo, exec_lo, s0
	scratch_load_b64 v[2:3], off, s33 offset:860 ; 8-byte Folded Reload
	s_wait_loadcnt 0x0
	v_fma_f64 v[74:75], v[2:3], v[88:89], v[62:63]
	s_wait_xcnt 0x0
	s_and_saveexec_b32 s0, s67
	s_cbranch_execz .LBB0_235
; %bb.233:                              ;   in Loop: Header=BB0_225 Depth=1
	scratch_load_b64 v[2:3], off, s33 offset:328
	v_readlane_b32 s3, v125, 18
	s_mov_b32 s1, 1
	s_mov_b32 s2, 0
.LBB0_234:                              ;   Parent Loop BB0_225 Depth=1
                                        ; =>  This Inner Loop Header: Depth=2
	scratch_load_b64 v[4:5], off, s3 offset:-16
	v_cvt_f64_i32_e32 v[6:7], s1
	s_add_co_i32 s1, s1, 1
	s_delay_alu instid0(SALU_CYCLE_1) | instskip(NEXT) | instid1(VALU_DEP_2)
	v_cmp_eq_u32_e32 vcc_lo, s1, v47
	v_mul_f64_e32 v[6:7], v[74:75], v[6:7]
	s_wait_loadcnt 0x0
	s_delay_alu instid0(VALU_DEP_1) | instskip(NEXT) | instid1(VALU_DEP_1)
	v_mul_f64_e32 v[4:5], v[4:5], v[6:7]
	v_fmac_f64_e32 v[4:5], v[0:1], v[2:3]
	s_delay_alu instid0(VALU_DEP_1) | instskip(SKIP_4) | instid1(SALU_CYCLE_1)
	v_mov_b64_e32 v[2:3], v[4:5]
	scratch_store_b64 off, v[4:5], s3
	s_wait_xcnt 0x0
	s_add_co_i32 s3, s3, 8
	s_or_b32 s2, vcc_lo, s2
	s_and_not1_b32 exec_lo, exec_lo, s2
	s_cbranch_execnz .LBB0_234
.LBB0_235:                              ;   in Loop: Header=BB0_225 Depth=1
	s_or_b32 exec_lo, exec_lo, s0
	s_delay_alu instid0(SALU_CYCLE_1) | instskip(SKIP_2) | instid1(SALU_CYCLE_1)
	s_mov_b32 s0, exec_lo
	v_readlane_b32 s1, v125, 6
	s_and_b32 s1, s0, s1
	s_mov_b32 exec_lo, s1
	s_cbranch_execz .LBB0_241
; %bb.236:                              ;   in Loop: Header=BB0_225 Depth=1
	v_mov_b64_e32 v[2:3], 1.0
	v_readlane_b32 s2, v125, 1
	s_mov_b32 s3, 1
	s_mov_b32 s1, 0
	s_branch .LBB0_238
.LBB0_237:                              ;   in Loop: Header=BB0_238 Depth=2
	s_or_b32 exec_lo, exec_lo, s4
	v_add_f64_e32 v[2:3], 1.0, v[2:3]
	v_cmp_eq_u32_e32 vcc_lo, s3, v124
	s_add_co_i32 s3, s3, 1
	s_add_co_i32 s2, s2, 56
	s_or_b32 s1, vcc_lo, s1
	s_delay_alu instid0(SALU_CYCLE_1)
	s_and_not1_b32 exec_lo, exec_lo, s1
	s_cbranch_execz .LBB0_241
.LBB0_238:                              ;   Parent Loop BB0_225 Depth=1
                                        ; =>  This Loop Header: Depth=2
                                        ;       Child Loop BB0_240 Depth 3
	s_mul_i32 s4, s3, 56
	s_delay_alu instid0(VALU_DEP_2) | instskip(SKIP_1) | instid1(SALU_CYCLE_1)
	v_mul_f64_e32 v[4:5], v[62:63], v[2:3]
	s_add_co_i32 s5, s33, s4
	s_add_co_i32 s4, s5, 0x140
	s_clause 0x1
	scratch_load_b64 v[6:7], off, s4
	scratch_load_b64 v[8:9], off, s4 offset:-56
	s_wait_loadcnt 0x1
	v_mul_f64_e32 v[6:7], v[0:1], v[6:7]
	s_wait_loadcnt 0x0
	s_delay_alu instid0(VALU_DEP_1)
	v_fmac_f64_e32 v[6:7], v[8:9], v[4:5]
	scratch_store_b64 off, v[6:7], s4 offset:8
	s_wait_xcnt 0x0
	s_and_saveexec_b32 s4, s67
	s_cbranch_execz .LBB0_237
; %bb.239:                              ;   in Loop: Header=BB0_238 Depth=2
	s_mov_b32 s5, 1
	s_mov_b32 s6, 0
	;; [unrolled: 1-line block ×3, first 2 shown]
.LBB0_240:                              ;   Parent Loop BB0_225 Depth=1
                                        ;     Parent Loop BB0_238 Depth=2
                                        ; =>    This Inner Loop Header: Depth=3
	s_clause 0x1
	scratch_load_b64 v[8:9], off, s7
	scratch_load_b64 v[10:11], off, s7 offset:-48
	v_cvt_f64_i32_e32 v[12:13], s5
	s_add_co_i32 s5, s5, 1
	s_delay_alu instid0(SALU_CYCLE_1) | instskip(NEXT) | instid1(VALU_DEP_2)
	v_cmp_eq_u32_e32 vcc_lo, s5, v47
	v_mul_f64_e32 v[12:13], v[74:75], v[12:13]
	s_wait_loadcnt 0x1
	s_delay_alu instid0(VALU_DEP_1) | instskip(SKIP_1) | instid1(VALU_DEP_1)
	v_mul_f64_e32 v[8:9], v[8:9], v[12:13]
	s_wait_loadcnt 0x0
	v_fmac_f64_e32 v[8:9], v[4:5], v[10:11]
	s_delay_alu instid0(VALU_DEP_1) | instskip(NEXT) | instid1(VALU_DEP_1)
	v_fmac_f64_e32 v[8:9], v[0:1], v[6:7]
	v_mov_b64_e32 v[6:7], v[8:9]
	scratch_store_b64 off, v[8:9], s7 offset:16
	s_wait_xcnt 0x0
	s_add_co_i32 s7, s7, 8
	s_or_b32 s6, vcc_lo, s6
	s_delay_alu instid0(SALU_CYCLE_1)
	s_and_not1_b32 exec_lo, exec_lo, s6
	s_cbranch_execnz .LBB0_240
	s_branch .LBB0_237
.LBB0_241:                              ;   in Loop: Header=BB0_225 Depth=1
	s_or_b32 exec_lo, exec_lo, s0
	v_mov_b64_e32 v[58:59], 0
	s_mov_b32 s84, exec_lo
	v_readlane_b32 s0, v125, 2
	s_and_b32 s0, s84, s0
	s_delay_alu instid0(SALU_CYCLE_1)
	s_mov_b32 exec_lo, s0
	s_cbranch_execz .LBB0_249
; %bb.242:                              ;   in Loop: Header=BB0_225 Depth=1
	scratch_load_b32 v110, off, s33 offset:880 ; 4-byte Folded Reload
	v_mov_b64_e32 v[58:59], 0
	s_mov_b32 s96, 0
	s_mov_b32 s97, 0
	s_branch .LBB0_244
.LBB0_243:                              ;   in Loop: Header=BB0_244 Depth=2
	s_or_b32 exec_lo, exec_lo, s98
	v_dual_mov_b32 v31, v40 :: v_dual_mov_b32 v0, v111
	v_mov_b32_e32 v1, s97
	s_mov_b64 s[4:5], s[48:49]
	s_mov_b64 s[6:7], s[38:39]
	;; [unrolled: 1-line block ×4, first 2 shown]
	s_mov_b32 s12, s53
	s_mov_b32 s13, s52
	;; [unrolled: 1-line block ×4, first 2 shown]
	s_swap_pc_i64 s[30:31], s[68:69]
	v_subrev_nc_u32_e32 v1, s97, v111
	v_add_nc_u32_e32 v110, 8, v110
	s_delay_alu instid0(VALU_DEP_2) | instskip(NEXT) | instid1(VALU_DEP_1)
	v_cvt_f64_i32_e32 v[2:3], v1
	v_cndmask_b32_e64 v5, v3, 0x3ff00000, s71
	s_delay_alu instid0(VALU_DEP_2) | instskip(NEXT) | instid1(VALU_DEP_1)
	v_cndmask_b32_e64 v4, v2, 0, s71
	v_cmp_neq_f64_e32 vcc_lo, 0, v[4:5]
	v_cndmask_b32_e32 v3, 0x3ff00000, v57, vcc_lo
	v_cndmask_b32_e32 v2, 0, v56, vcc_lo
	s_delay_alu instid0(VALU_DEP_1) | instskip(NEXT) | instid1(VALU_DEP_1)
	v_frexp_mant_f64_e64 v[6:7], |v[2:3]|
	v_cmp_gt_f64_e32 vcc_lo, s[102:103], v[6:7]
	v_cndmask_b32_e64 v1, 0, 1, vcc_lo
	s_delay_alu instid0(VALU_DEP_1) | instskip(NEXT) | instid1(VALU_DEP_1)
	v_ldexp_f64 v[6:7], v[6:7], v1
	v_add_f64_e32 v[8:9], 1.0, v[6:7]
	v_add_f64_e32 v[14:15], -1.0, v[6:7]
	v_frexp_exp_i32_f64_e32 v1, v[2:3]
	v_cmp_eq_f64_e64 s2, 0, v[2:3]
	v_cmp_class_f64_e64 s3, v[2:3], 0x204
	v_rcp_f64_e32 v[10:11], v[8:9]
	v_add_f64_e32 v[16:17], -1.0, v[8:9]
	s_delay_alu instid0(VALU_DEP_4) | instskip(NEXT) | instid1(VALU_DEP_2)
	v_subrev_co_ci_u32_e64 v1, null, 0, v1, vcc_lo
	v_add_f64_e64 v[6:7], v[6:7], -v[16:17]
	s_delay_alu instid0(TRANS32_DEP_1) | instskip(NEXT) | instid1(VALU_DEP_1)
	v_fma_f64 v[12:13], -v[8:9], v[10:11], 1.0
	v_fmac_f64_e32 v[10:11], v[12:13], v[10:11]
	s_delay_alu instid0(VALU_DEP_1) | instskip(NEXT) | instid1(VALU_DEP_1)
	v_fma_f64 v[12:13], -v[8:9], v[10:11], 1.0
	v_fmac_f64_e32 v[10:11], v[12:13], v[10:11]
	s_delay_alu instid0(VALU_DEP_1) | instskip(NEXT) | instid1(VALU_DEP_1)
	v_mul_f64_e32 v[12:13], v[14:15], v[10:11]
	v_mul_f64_e32 v[18:19], v[8:9], v[12:13]
	s_delay_alu instid0(VALU_DEP_1) | instskip(NEXT) | instid1(VALU_DEP_1)
	v_fma_f64 v[8:9], v[12:13], v[8:9], -v[18:19]
	v_fmac_f64_e32 v[8:9], v[12:13], v[6:7]
	s_delay_alu instid0(VALU_DEP_1) | instskip(NEXT) | instid1(VALU_DEP_1)
	v_add_f64_e32 v[6:7], v[18:19], v[8:9]
	v_add_f64_e64 v[16:17], v[14:15], -v[6:7]
	v_add_f64_e64 v[18:19], v[6:7], -v[18:19]
	s_delay_alu instid0(VALU_DEP_2) | instskip(NEXT) | instid1(VALU_DEP_2)
	v_add_f64_e64 v[14:15], v[14:15], -v[16:17]
	v_add_f64_e64 v[8:9], v[18:19], -v[8:9]
	s_delay_alu instid0(VALU_DEP_2) | instskip(NEXT) | instid1(VALU_DEP_1)
	v_add_f64_e64 v[6:7], v[14:15], -v[6:7]
	v_add_f64_e32 v[6:7], v[8:9], v[6:7]
	s_delay_alu instid0(VALU_DEP_1) | instskip(NEXT) | instid1(VALU_DEP_1)
	v_add_f64_e32 v[6:7], v[16:17], v[6:7]
	v_mul_f64_e32 v[6:7], v[10:11], v[6:7]
	s_delay_alu instid0(VALU_DEP_1) | instskip(NEXT) | instid1(VALU_DEP_1)
	v_add_f64_e32 v[8:9], v[12:13], v[6:7]
	v_add_f64_e64 v[10:11], v[8:9], -v[12:13]
	v_mul_f64_e32 v[12:13], v[8:9], v[8:9]
	s_delay_alu instid0(VALU_DEP_2) | instskip(NEXT) | instid1(VALU_DEP_2)
	v_add_f64_e64 v[6:7], v[6:7], -v[10:11]
	v_fma_f64 v[10:11], v[8:9], v[8:9], -v[12:13]
	s_delay_alu instid0(VALU_DEP_2) | instskip(NEXT) | instid1(VALU_DEP_1)
	v_add_f64_e32 v[14:15], v[6:7], v[6:7]
	v_fmac_f64_e32 v[10:11], v[8:9], v[14:15]
	s_delay_alu instid0(VALU_DEP_1) | instskip(NEXT) | instid1(VALU_DEP_1)
	v_add_f64_e32 v[14:15], v[12:13], v[10:11]
	v_fmamk_f64 v[16:17], v[14:15], 0x3fbdee674222de17, v[90:91]
	v_add_f64_e64 v[12:13], v[14:15], -v[12:13]
	v_mul_f64_e32 v[22:23], v[8:9], v[14:15]
	s_delay_alu instid0(VALU_DEP_3) | instskip(NEXT) | instid1(VALU_DEP_1)
	v_fmaak_f64 v[16:17], v[14:15], v[16:17], 0x3fbe25e43abe935a
	v_fmaak_f64 v[16:17], v[14:15], v[16:17], 0x3fc110ef47e6c9c2
	s_delay_alu instid0(VALU_DEP_1) | instskip(NEXT) | instid1(VALU_DEP_1)
	v_fmaak_f64 v[16:17], v[14:15], v[16:17], 0x3fc3b13bcfa74449
	v_fmaak_f64 v[16:17], v[14:15], v[16:17], 0x3fc745d171bf3c30
	v_add_f64_e64 v[10:11], v[10:11], -v[12:13]
	s_delay_alu instid0(VALU_DEP_2) | instskip(NEXT) | instid1(VALU_DEP_1)
	v_fmaak_f64 v[16:17], v[14:15], v[16:17], 0x3fcc71c71c7792ce
	v_fmaak_f64 v[16:17], v[14:15], v[16:17], 0x3fd24924924920da
	s_delay_alu instid0(VALU_DEP_1) | instskip(NEXT) | instid1(VALU_DEP_1)
	v_fmaak_f64 v[16:17], v[14:15], v[16:17], 0x3fd999999999999c
	v_mul_f64_e32 v[18:19], v[14:15], v[16:17]
	s_delay_alu instid0(VALU_DEP_1) | instskip(NEXT) | instid1(VALU_DEP_1)
	v_fma_f64 v[12:13], v[14:15], v[16:17], -v[18:19]
	v_fmac_f64_e32 v[12:13], v[10:11], v[16:17]
	s_delay_alu instid0(VALU_DEP_1) | instskip(NEXT) | instid1(VALU_DEP_1)
	v_add_f64_e32 v[16:17], v[18:19], v[12:13]
	v_add_f64_e32 v[20:21], 0x3fe5555555555555, v[16:17]
	v_add_f64_e64 v[18:19], v[16:17], -v[18:19]
	s_delay_alu instid0(VALU_DEP_2) | instskip(NEXT) | instid1(VALU_DEP_2)
	v_add_f64_e32 v[24:25], 0xbfe5555555555555, v[20:21]
	v_add_f64_e64 v[12:13], v[12:13], -v[18:19]
	v_fma_f64 v[18:19], v[14:15], v[8:9], -v[22:23]
	s_delay_alu instid0(VALU_DEP_3) | instskip(NEXT) | instid1(VALU_DEP_3)
	v_add_f64_e64 v[16:17], v[16:17], -v[24:25]
	v_add_f64_e32 v[12:13], 0x3c8543b0d5df274d, v[12:13]
	s_delay_alu instid0(VALU_DEP_3) | instskip(SKIP_1) | instid1(VALU_DEP_3)
	v_fmac_f64_e32 v[18:19], v[14:15], v[6:7]
	v_ldexp_f64 v[6:7], v[6:7], 1
	v_add_f64_e32 v[12:13], v[12:13], v[16:17]
	s_delay_alu instid0(VALU_DEP_3) | instskip(SKIP_1) | instid1(VALU_DEP_3)
	v_fmac_f64_e32 v[18:19], v[10:11], v[8:9]
	v_ldexp_f64 v[8:9], v[8:9], 1
	v_add_f64_e32 v[10:11], v[20:21], v[12:13]
	s_delay_alu instid0(VALU_DEP_3) | instskip(NEXT) | instid1(VALU_DEP_2)
	v_add_f64_e32 v[14:15], v[22:23], v[18:19]
	v_add_f64_e64 v[16:17], v[20:21], -v[10:11]
	s_delay_alu instid0(VALU_DEP_2) | instskip(SKIP_1) | instid1(VALU_DEP_3)
	v_mul_f64_e32 v[20:21], v[14:15], v[10:11]
	v_add_f64_e64 v[22:23], v[14:15], -v[22:23]
	v_add_f64_e32 v[12:13], v[12:13], v[16:17]
	s_delay_alu instid0(VALU_DEP_3) | instskip(NEXT) | instid1(VALU_DEP_3)
	v_fma_f64 v[16:17], v[14:15], v[10:11], -v[20:21]
	v_add_f64_e64 v[18:19], v[18:19], -v[22:23]
	s_delay_alu instid0(VALU_DEP_2) | instskip(SKIP_1) | instid1(VALU_DEP_2)
	v_fmac_f64_e32 v[16:17], v[14:15], v[12:13]
	v_cvt_f64_i32_e32 v[12:13], v1
	v_fmac_f64_e32 v[16:17], v[18:19], v[10:11]
	s_delay_alu instid0(VALU_DEP_1) | instskip(NEXT) | instid1(VALU_DEP_1)
	v_add_f64_e32 v[10:11], v[20:21], v[16:17]
	v_add_f64_e32 v[14:15], v[8:9], v[10:11]
	v_add_f64_e64 v[18:19], v[10:11], -v[20:21]
	v_mul_f64_e32 v[20:21], 0x3fe62e42fefa39ef, v[12:13]
	s_delay_alu instid0(VALU_DEP_3) | instskip(NEXT) | instid1(VALU_DEP_3)
	v_add_f64_e64 v[8:9], v[14:15], -v[8:9]
	v_add_f64_e64 v[16:17], v[16:17], -v[18:19]
	s_delay_alu instid0(VALU_DEP_3) | instskip(NEXT) | instid1(VALU_DEP_3)
	v_fma_f64 v[18:19], v[12:13], s[64:65], -v[20:21]
	v_add_f64_e64 v[8:9], v[10:11], -v[8:9]
	s_delay_alu instid0(VALU_DEP_3) | instskip(NEXT) | instid1(VALU_DEP_3)
	v_add_f64_e32 v[6:7], v[6:7], v[16:17]
	v_fmac_f64_e32 v[18:19], 0x3c7abc9e3b39803f, v[12:13]
	s_delay_alu instid0(VALU_DEP_2) | instskip(NEXT) | instid1(VALU_DEP_2)
	v_add_f64_e32 v[6:7], v[6:7], v[8:9]
	v_add_f64_e32 v[8:9], v[20:21], v[18:19]
	s_delay_alu instid0(VALU_DEP_2) | instskip(NEXT) | instid1(VALU_DEP_2)
	v_add_f64_e32 v[10:11], v[14:15], v[6:7]
	v_add_f64_e64 v[20:21], v[8:9], -v[20:21]
	s_delay_alu instid0(VALU_DEP_2) | instskip(SKIP_1) | instid1(VALU_DEP_3)
	v_add_f64_e32 v[12:13], v[8:9], v[10:11]
	v_add_f64_e64 v[14:15], v[10:11], -v[14:15]
	v_add_f64_e64 v[18:19], v[18:19], -v[20:21]
	s_delay_alu instid0(VALU_DEP_3) | instskip(NEXT) | instid1(VALU_DEP_3)
	v_add_f64_e64 v[16:17], v[12:13], -v[8:9]
	v_add_f64_e64 v[6:7], v[6:7], -v[14:15]
	s_delay_alu instid0(VALU_DEP_2) | instskip(SKIP_1) | instid1(VALU_DEP_3)
	v_add_f64_e64 v[22:23], v[12:13], -v[16:17]
	v_add_f64_e64 v[10:11], v[10:11], -v[16:17]
	v_add_f64_e32 v[14:15], v[18:19], v[6:7]
	s_delay_alu instid0(VALU_DEP_3) | instskip(NEXT) | instid1(VALU_DEP_1)
	v_add_f64_e64 v[8:9], v[8:9], -v[22:23]
	v_add_f64_e32 v[8:9], v[10:11], v[8:9]
	s_delay_alu instid0(VALU_DEP_3) | instskip(NEXT) | instid1(VALU_DEP_2)
	v_add_f64_e64 v[10:11], v[14:15], -v[18:19]
	v_add_f64_e32 v[8:9], v[14:15], v[8:9]
	s_delay_alu instid0(VALU_DEP_2) | instskip(SKIP_1) | instid1(VALU_DEP_3)
	v_add_f64_e64 v[14:15], v[14:15], -v[10:11]
	v_add_f64_e64 v[6:7], v[6:7], -v[10:11]
	v_add_f64_e32 v[16:17], v[12:13], v[8:9]
	s_delay_alu instid0(VALU_DEP_3) | instskip(NEXT) | instid1(VALU_DEP_2)
	v_add_f64_e64 v[10:11], v[18:19], -v[14:15]
	v_add_f64_e64 v[12:13], v[16:17], -v[12:13]
	s_delay_alu instid0(VALU_DEP_2) | instskip(NEXT) | instid1(VALU_DEP_2)
	v_add_f64_e32 v[6:7], v[6:7], v[10:11]
	v_add_f64_e64 v[8:9], v[8:9], -v[12:13]
	s_delay_alu instid0(VALU_DEP_1) | instskip(NEXT) | instid1(VALU_DEP_1)
	v_add_f64_e32 v[6:7], v[6:7], v[8:9]
	v_add_f64_e32 v[8:9], v[16:17], v[6:7]
	s_delay_alu instid0(VALU_DEP_1) | instskip(SKIP_1) | instid1(VALU_DEP_2)
	v_add_f64_e64 v[10:11], v[8:9], -v[16:17]
	v_mul_f64_e32 v[12:13], v[4:5], v[8:9]
	v_add_f64_e64 v[6:7], v[6:7], -v[10:11]
	s_delay_alu instid0(VALU_DEP_2) | instskip(SKIP_1) | instid1(VALU_DEP_2)
	v_fma_f64 v[8:9], v[4:5], v[8:9], -v[12:13]
	v_cmp_class_f64_e64 vcc_lo, v[12:13], 0x204
	v_fmac_f64_e32 v[8:9], v[4:5], v[6:7]
	s_delay_alu instid0(VALU_DEP_1) | instskip(NEXT) | instid1(VALU_DEP_1)
	v_add_f64_e32 v[6:7], v[12:13], v[8:9]
	v_dual_cndmask_b32 v11, v7, v13 :: v_dual_cndmask_b32 v10, v6, v12
	v_add_f64_e64 v[6:7], v[6:7], -v[12:13]
	s_delay_alu instid0(VALU_DEP_2)
	v_mul_f64_e32 v[14:15], 0x3ff71547652b82fe, v[10:11]
	v_cmp_nlt_f64_e64 s0, 0x40900000, v[10:11]
	v_cmp_neq_f64_e64 vcc_lo, 0x7ff00000, |v[10:11]|
	v_cmp_ngt_f64_e64 s1, 0xc090cc00, v[10:11]
	v_add_f64_e64 v[6:7], v[8:9], -v[6:7]
	v_trunc_f64_e32 v[8:9], v[4:5]
	v_rndne_f64_e32 v[14:15], v[14:15]
	s_delay_alu instid0(VALU_DEP_3) | instskip(SKIP_1) | instid1(VALU_DEP_2)
	v_dual_cndmask_b32 v7, 0, v7 :: v_dual_cndmask_b32 v6, 0, v6
	s_and_b32 vcc_lo, s1, s0
	v_fmamk_f64 v[16:17], v[14:15], 0xbfe62e42fefa39ef, v[10:11]
	v_cvt_i32_f64_e32 v1, v[14:15]
	s_delay_alu instid0(VALU_DEP_2) | instskip(NEXT) | instid1(VALU_DEP_1)
	v_fmac_f64_e32 v[16:17], 0xbc7abc9e3b39803f, v[14:15]
	v_fmamk_f64 v[18:19], v[16:17], 0x3e5ade156a5dcb37, v[104:105]
	s_delay_alu instid0(VALU_DEP_1) | instskip(NEXT) | instid1(VALU_DEP_1)
	v_fmaak_f64 v[18:19], v[16:17], v[18:19], 0x3ec71dee623fde64
	v_fmaak_f64 v[18:19], v[16:17], v[18:19], 0x3efa01997c89e6b0
	s_delay_alu instid0(VALU_DEP_1) | instskip(NEXT) | instid1(VALU_DEP_1)
	v_fmaak_f64 v[18:19], v[16:17], v[18:19], 0x3f2a01a014761f6e
	v_fmaak_f64 v[18:19], v[16:17], v[18:19], 0x3f56c16c1852b7b0
	s_delay_alu instid0(VALU_DEP_1) | instskip(NEXT) | instid1(VALU_DEP_1)
	v_fmaak_f64 v[18:19], v[16:17], v[18:19], 0x3f81111111122322
	v_fmaak_f64 v[18:19], v[16:17], v[18:19], 0x3fa55555555502a1
	s_delay_alu instid0(VALU_DEP_1) | instskip(NEXT) | instid1(VALU_DEP_1)
	v_fmaak_f64 v[18:19], v[16:17], v[18:19], 0x3fc5555555555511
	v_fmaak_f64 v[18:19], v[16:17], v[18:19], 0x3fe000000000000b
	s_delay_alu instid0(VALU_DEP_1) | instskip(NEXT) | instid1(VALU_DEP_1)
	v_fma_f64 v[18:19], v[16:17], v[18:19], 1.0
	v_fma_f64 v[14:15], v[16:17], v[18:19], 1.0
	s_delay_alu instid0(VALU_DEP_1) | instskip(SKIP_1) | instid1(VALU_DEP_2)
	v_ldexp_f64 v[12:13], v[14:15], v1
	v_mul_f64_e32 v[14:15], 0.5, v[4:5]
	v_cndmask_b32_e64 v1, 0x7ff00000, v13, s0
	s_delay_alu instid0(VALU_DEP_2) | instskip(NEXT) | instid1(VALU_DEP_4)
	v_trunc_f64_e32 v[10:11], v[14:15]
	v_cndmask_b32_e32 v12, 0, v12, vcc_lo
	v_cmp_eq_f64_e32 vcc_lo, v[8:9], v[4:5]
	s_delay_alu instid0(VALU_DEP_4) | instskip(NEXT) | instid1(VALU_DEP_1)
	v_cndmask_b32_e64 v13, 0, v1, s1
	v_fma_f64 v[6:7], v[12:13], v[6:7], v[12:13]
	v_cmp_class_f64_e64 s1, v[12:13], 0x204
	v_cmp_neq_f64_e64 s0, v[10:11], v[14:15]
	s_delay_alu instid0(VALU_DEP_2) | instskip(SKIP_1) | instid1(VALU_DEP_2)
	v_dual_cndmask_b32 v7, v7, v13, s1 :: v_dual_cndmask_b32 v6, v6, v12, s1
	v_cmp_gt_f64_e64 s1, 0, v[4:5]
	v_cndmask_b32_e32 v5, 0, v6, vcc_lo
	s_and_b32 s0, vcc_lo, s0
	s_delay_alu instid0(SALU_CYCLE_1) | instskip(SKIP_1) | instid1(VALU_DEP_2)
	v_cndmask_b32_e64 v1, 0x3ff00000, v3, s0
	v_cndmask_b32_e64 v8, 0, v3, s0
	v_bfi_b32 v1, 0x7fffffff, v7, v1
	s_delay_alu instid0(VALU_DEP_1) | instskip(SKIP_2) | instid1(SALU_CYCLE_1)
	v_cndmask_b32_e32 v4, 0x7ff80000, v1, vcc_lo
	v_cmp_gt_f64_e32 vcc_lo, 0, v[2:3]
	s_xor_b32 s1, s1, s2
	v_cndmask_b32_e64 v7, 0x7ff00000, 0, s1
	s_delay_alu instid0(VALU_DEP_1)
	v_bfi_b32 v7, 0x7fffffff, v7, v8
	v_dual_cndmask_b32 v5, v6, v5, vcc_lo :: v_dual_cndmask_b32 v1, v1, v4, vcc_lo
	s_or_b32 vcc_lo, s2, s3
	s_delay_alu instid0(VALU_DEP_1) | instid1(SALU_CYCLE_1)
	v_cndmask_b32_e64 v5, v5, 0, vcc_lo
	s_delay_alu instid0(VALU_DEP_2) | instskip(SKIP_2) | instid1(VALU_DEP_4)
	v_cndmask_b32_e32 v4, v1, v7, vcc_lo
	v_cmp_o_f64_e32 vcc_lo, v[2:3], v[2:3]
	v_cvt_f64_i32_e32 v[0:1], v0
	v_cndmask_b32_e32 v2, 0, v5, vcc_lo
	s_delay_alu instid0(VALU_DEP_4) | instskip(SKIP_2) | instid1(VALU_DEP_2)
	v_cndmask_b32_e32 v3, 0x7ff80000, v4, vcc_lo
	v_cmp_eq_u32_e32 vcc_lo, s97, v111
	s_add_co_i32 s97, s97, 1
	v_mul_f64_e32 v[0:1], v[2:3], v[0:1]
	s_or_b32 s96, vcc_lo, s96
	s_delay_alu instid0(VALU_DEP_1)
	v_fmac_f64_e32 v[58:59], v[106:107], v[0:1]
	s_and_not1_b32 exec_lo, exec_lo, s96
	s_cbranch_execz .LBB0_248
.LBB0_244:                              ;   Parent Loop BB0_225 Depth=1
                                        ; =>  This Loop Header: Depth=2
                                        ;       Child Loop BB0_246 Depth 3
	v_mov_b64_e32 v[106:107], 0
	s_wait_xcnt 0x0
	s_and_saveexec_b32 s98, s55
	s_cbranch_execz .LBB0_243
; %bb.245:                              ;   in Loop: Header=BB0_244 Depth=2
	v_mov_b64_e32 v[106:107], 0
	s_wait_loadcnt 0x0
	v_dual_mov_b32 v108, v41 :: v_dual_mov_b32 v109, v110
	s_mov_b32 s100, 0
	s_mov_b32 s104, 0
.LBB0_246:                              ;   Parent Loop BB0_225 Depth=1
                                        ;     Parent Loop BB0_244 Depth=2
                                        ; =>    This Inner Loop Header: Depth=3
	v_dual_mov_b32 v31, v40 :: v_dual_mov_b32 v0, v41
	v_mov_b32_e32 v1, s104
	s_mov_b64 s[4:5], s[48:49]
	s_mov_b64 s[6:7], s[38:39]
	;; [unrolled: 1-line block ×4, first 2 shown]
	s_mov_b32 s12, s53
	s_mov_b32 s13, s52
	;; [unrolled: 1-line block ×4, first 2 shown]
	s_swap_pc_i64 s[30:31], s[68:69]
	v_cvt_f64_i32_e32 v[2:3], v108
	s_add_co_i32 s104, s104, 1
	v_add_nc_u32_e32 v108, -1, v108
	s_delay_alu instid0(VALU_DEP_2) | instskip(NEXT) | instid1(VALU_DEP_3)
	v_cndmask_b32_e64 v5, v3, 0x3ff00000, s70
	v_cndmask_b32_e64 v4, v2, 0, s70
	s_delay_alu instid0(VALU_DEP_1) | instskip(SKIP_2) | instid1(VALU_DEP_1)
	v_cmp_neq_f64_e32 vcc_lo, 0, v[4:5]
	v_cndmask_b32_e32 v3, 0x3ff00000, v77, vcc_lo
	v_cndmask_b32_e32 v2, 0, v76, vcc_lo
	v_frexp_mant_f64_e64 v[6:7], |v[2:3]|
	s_delay_alu instid0(VALU_DEP_1) | instskip(SKIP_1) | instid1(VALU_DEP_1)
	v_cmp_gt_f64_e32 vcc_lo, s[102:103], v[6:7]
	v_cndmask_b32_e64 v1, 0, 1, vcc_lo
	v_ldexp_f64 v[6:7], v[6:7], v1
	s_delay_alu instid0(VALU_DEP_1) | instskip(SKIP_2) | instid1(VALU_DEP_3)
	v_add_f64_e32 v[8:9], 1.0, v[6:7]
	v_add_f64_e32 v[14:15], -1.0, v[6:7]
	v_frexp_exp_i32_f64_e32 v1, v[2:3]
	v_rcp_f64_e32 v[10:11], v[8:9]
	v_add_f64_e32 v[16:17], -1.0, v[8:9]
	s_delay_alu instid0(VALU_DEP_2) | instskip(NEXT) | instid1(VALU_DEP_2)
	v_subrev_co_ci_u32_e64 v1, null, 0, v1, vcc_lo
	v_add_f64_e64 v[6:7], v[6:7], -v[16:17]
	s_delay_alu instid0(TRANS32_DEP_1) | instskip(NEXT) | instid1(VALU_DEP_1)
	v_fma_f64 v[12:13], -v[8:9], v[10:11], 1.0
	v_fmac_f64_e32 v[10:11], v[12:13], v[10:11]
	s_delay_alu instid0(VALU_DEP_1) | instskip(NEXT) | instid1(VALU_DEP_1)
	v_fma_f64 v[12:13], -v[8:9], v[10:11], 1.0
	v_fmac_f64_e32 v[10:11], v[12:13], v[10:11]
	s_delay_alu instid0(VALU_DEP_1) | instskip(NEXT) | instid1(VALU_DEP_1)
	v_mul_f64_e32 v[12:13], v[14:15], v[10:11]
	v_mul_f64_e32 v[18:19], v[8:9], v[12:13]
	s_delay_alu instid0(VALU_DEP_1) | instskip(NEXT) | instid1(VALU_DEP_1)
	v_fma_f64 v[8:9], v[12:13], v[8:9], -v[18:19]
	v_fmac_f64_e32 v[8:9], v[12:13], v[6:7]
	s_delay_alu instid0(VALU_DEP_1) | instskip(NEXT) | instid1(VALU_DEP_1)
	v_add_f64_e32 v[6:7], v[18:19], v[8:9]
	v_add_f64_e64 v[16:17], v[14:15], -v[6:7]
	v_add_f64_e64 v[18:19], v[6:7], -v[18:19]
	s_delay_alu instid0(VALU_DEP_2) | instskip(NEXT) | instid1(VALU_DEP_2)
	v_add_f64_e64 v[14:15], v[14:15], -v[16:17]
	v_add_f64_e64 v[8:9], v[18:19], -v[8:9]
	s_delay_alu instid0(VALU_DEP_2) | instskip(NEXT) | instid1(VALU_DEP_1)
	v_add_f64_e64 v[6:7], v[14:15], -v[6:7]
	v_add_f64_e32 v[6:7], v[8:9], v[6:7]
	s_delay_alu instid0(VALU_DEP_1) | instskip(NEXT) | instid1(VALU_DEP_1)
	v_add_f64_e32 v[6:7], v[16:17], v[6:7]
	v_mul_f64_e32 v[6:7], v[10:11], v[6:7]
	s_delay_alu instid0(VALU_DEP_1) | instskip(NEXT) | instid1(VALU_DEP_1)
	v_add_f64_e32 v[8:9], v[12:13], v[6:7]
	v_add_f64_e64 v[10:11], v[8:9], -v[12:13]
	v_mul_f64_e32 v[12:13], v[8:9], v[8:9]
	s_delay_alu instid0(VALU_DEP_2) | instskip(NEXT) | instid1(VALU_DEP_2)
	v_add_f64_e64 v[6:7], v[6:7], -v[10:11]
	v_fma_f64 v[10:11], v[8:9], v[8:9], -v[12:13]
	s_delay_alu instid0(VALU_DEP_2) | instskip(NEXT) | instid1(VALU_DEP_1)
	v_add_f64_e32 v[14:15], v[6:7], v[6:7]
	v_fmac_f64_e32 v[10:11], v[8:9], v[14:15]
	s_delay_alu instid0(VALU_DEP_1) | instskip(NEXT) | instid1(VALU_DEP_1)
	v_add_f64_e32 v[14:15], v[12:13], v[10:11]
	v_fmamk_f64 v[16:17], v[14:15], 0x3fbdee674222de17, v[90:91]
	v_add_f64_e64 v[12:13], v[14:15], -v[12:13]
	v_mul_f64_e32 v[20:21], v[8:9], v[14:15]
	s_delay_alu instid0(VALU_DEP_3) | instskip(NEXT) | instid1(VALU_DEP_1)
	v_fmaak_f64 v[16:17], v[14:15], v[16:17], 0x3fbe25e43abe935a
	v_fmaak_f64 v[16:17], v[14:15], v[16:17], 0x3fc110ef47e6c9c2
	s_delay_alu instid0(VALU_DEP_1) | instskip(NEXT) | instid1(VALU_DEP_1)
	v_fmaak_f64 v[16:17], v[14:15], v[16:17], 0x3fc3b13bcfa74449
	v_fmaak_f64 v[16:17], v[14:15], v[16:17], 0x3fc745d171bf3c30
	v_add_f64_e64 v[10:11], v[10:11], -v[12:13]
	v_fma_f64 v[24:25], v[14:15], v[8:9], -v[20:21]
	s_delay_alu instid0(VALU_DEP_3) | instskip(NEXT) | instid1(VALU_DEP_1)
	v_fmaak_f64 v[16:17], v[14:15], v[16:17], 0x3fcc71c71c7792ce
	v_fmaak_f64 v[16:17], v[14:15], v[16:17], 0x3fd24924924920da
	s_delay_alu instid0(VALU_DEP_1) | instskip(NEXT) | instid1(VALU_DEP_1)
	v_fmaak_f64 v[16:17], v[14:15], v[16:17], 0x3fd999999999999c
	v_mul_f64_e32 v[18:19], v[14:15], v[16:17]
	v_fmac_f64_e32 v[24:25], v[14:15], v[6:7]
	v_ldexp_f64 v[6:7], v[6:7], 1
	s_delay_alu instid0(VALU_DEP_3) | instskip(NEXT) | instid1(VALU_DEP_3)
	v_fma_f64 v[12:13], v[14:15], v[16:17], -v[18:19]
	v_fmac_f64_e32 v[24:25], v[10:11], v[8:9]
	v_ldexp_f64 v[8:9], v[8:9], 1
	s_delay_alu instid0(VALU_DEP_3) | instskip(NEXT) | instid1(VALU_DEP_1)
	v_fmac_f64_e32 v[12:13], v[10:11], v[16:17]
	v_add_f64_e32 v[16:17], v[18:19], v[12:13]
	s_delay_alu instid0(VALU_DEP_1) | instskip(SKIP_1) | instid1(VALU_DEP_2)
	v_add_f64_e32 v[22:23], 0x3fe5555555555555, v[16:17]
	v_add_f64_e64 v[18:19], v[16:17], -v[18:19]
	v_add_f64_e32 v[26:27], 0xbfe5555555555555, v[22:23]
	s_delay_alu instid0(VALU_DEP_2) | instskip(NEXT) | instid1(VALU_DEP_2)
	v_add_f64_e64 v[12:13], v[12:13], -v[18:19]
	v_add_f64_e64 v[14:15], v[16:17], -v[26:27]
	s_delay_alu instid0(VALU_DEP_2) | instskip(NEXT) | instid1(VALU_DEP_1)
	v_add_f64_e32 v[12:13], 0x3c8543b0d5df274d, v[12:13]
	v_add_f64_e32 v[10:11], v[12:13], v[14:15]
	;; [unrolled: 1-line block ×3, first 2 shown]
	s_delay_alu instid0(VALU_DEP_2) | instskip(NEXT) | instid1(VALU_DEP_2)
	v_add_f64_e32 v[14:15], v[22:23], v[10:11]
	v_add_f64_e64 v[20:21], v[12:13], -v[20:21]
	s_delay_alu instid0(VALU_DEP_2) | instskip(SKIP_1) | instid1(VALU_DEP_3)
	v_add_f64_e64 v[16:17], v[22:23], -v[14:15]
	v_mul_f64_e32 v[18:19], v[12:13], v[14:15]
	v_add_f64_e64 v[20:21], v[24:25], -v[20:21]
	s_delay_alu instid0(VALU_DEP_3) | instskip(NEXT) | instid1(VALU_DEP_3)
	v_add_f64_e32 v[10:11], v[10:11], v[16:17]
	v_fma_f64 v[16:17], v[12:13], v[14:15], -v[18:19]
	s_delay_alu instid0(VALU_DEP_1) | instskip(SKIP_1) | instid1(VALU_DEP_2)
	v_fmac_f64_e32 v[16:17], v[12:13], v[10:11]
	v_cvt_f64_i32_e32 v[12:13], v1
	v_fmac_f64_e32 v[16:17], v[20:21], v[14:15]
	s_delay_alu instid0(VALU_DEP_2) | instskip(NEXT) | instid1(VALU_DEP_2)
	v_mul_f64_e32 v[20:21], 0x3fe62e42fefa39ef, v[12:13]
	v_add_f64_e32 v[10:11], v[18:19], v[16:17]
	s_delay_alu instid0(VALU_DEP_1) | instskip(SKIP_1) | instid1(VALU_DEP_2)
	v_add_f64_e32 v[14:15], v[8:9], v[10:11]
	v_add_f64_e64 v[18:19], v[10:11], -v[18:19]
	v_add_f64_e64 v[8:9], v[14:15], -v[8:9]
	s_delay_alu instid0(VALU_DEP_2) | instskip(SKIP_1) | instid1(VALU_DEP_3)
	v_add_f64_e64 v[16:17], v[16:17], -v[18:19]
	v_fma_f64 v[18:19], v[12:13], s[64:65], -v[20:21]
	v_add_f64_e64 v[8:9], v[10:11], -v[8:9]
	s_delay_alu instid0(VALU_DEP_3) | instskip(NEXT) | instid1(VALU_DEP_3)
	v_add_f64_e32 v[6:7], v[6:7], v[16:17]
	v_fmac_f64_e32 v[18:19], 0x3c7abc9e3b39803f, v[12:13]
	s_delay_alu instid0(VALU_DEP_2) | instskip(NEXT) | instid1(VALU_DEP_2)
	v_add_f64_e32 v[6:7], v[6:7], v[8:9]
	v_add_f64_e32 v[8:9], v[20:21], v[18:19]
	s_delay_alu instid0(VALU_DEP_2) | instskip(NEXT) | instid1(VALU_DEP_2)
	v_add_f64_e32 v[10:11], v[14:15], v[6:7]
	v_add_f64_e64 v[20:21], v[8:9], -v[20:21]
	s_delay_alu instid0(VALU_DEP_2) | instskip(SKIP_1) | instid1(VALU_DEP_3)
	v_add_f64_e32 v[12:13], v[8:9], v[10:11]
	v_add_f64_e64 v[14:15], v[10:11], -v[14:15]
	v_add_f64_e64 v[18:19], v[18:19], -v[20:21]
	s_delay_alu instid0(VALU_DEP_3) | instskip(NEXT) | instid1(VALU_DEP_3)
	v_add_f64_e64 v[16:17], v[12:13], -v[8:9]
	v_add_f64_e64 v[6:7], v[6:7], -v[14:15]
	s_delay_alu instid0(VALU_DEP_2) | instskip(SKIP_1) | instid1(VALU_DEP_3)
	v_add_f64_e64 v[22:23], v[12:13], -v[16:17]
	v_add_f64_e64 v[10:11], v[10:11], -v[16:17]
	v_add_f64_e32 v[14:15], v[18:19], v[6:7]
	s_delay_alu instid0(VALU_DEP_3) | instskip(NEXT) | instid1(VALU_DEP_1)
	v_add_f64_e64 v[8:9], v[8:9], -v[22:23]
	v_add_f64_e32 v[8:9], v[10:11], v[8:9]
	s_delay_alu instid0(VALU_DEP_3) | instskip(NEXT) | instid1(VALU_DEP_2)
	v_add_f64_e64 v[10:11], v[14:15], -v[18:19]
	v_add_f64_e32 v[8:9], v[14:15], v[8:9]
	s_delay_alu instid0(VALU_DEP_2) | instskip(SKIP_1) | instid1(VALU_DEP_3)
	v_add_f64_e64 v[14:15], v[14:15], -v[10:11]
	v_add_f64_e64 v[6:7], v[6:7], -v[10:11]
	v_add_f64_e32 v[16:17], v[12:13], v[8:9]
	s_delay_alu instid0(VALU_DEP_3)
	v_add_f64_e64 v[10:11], v[18:19], -v[14:15]
	scratch_load_b64 v[18:19], v109, off
	s_wait_xcnt 0x0
	v_add_nc_u32_e32 v109, 56, v109
	v_add_f64_e64 v[12:13], v[16:17], -v[12:13]
	v_add_f64_e32 v[6:7], v[6:7], v[10:11]
	s_delay_alu instid0(VALU_DEP_2) | instskip(NEXT) | instid1(VALU_DEP_1)
	v_add_f64_e64 v[8:9], v[8:9], -v[12:13]
	v_add_f64_e32 v[6:7], v[6:7], v[8:9]
	s_delay_alu instid0(VALU_DEP_1) | instskip(NEXT) | instid1(VALU_DEP_1)
	v_add_f64_e32 v[8:9], v[16:17], v[6:7]
	v_add_f64_e64 v[10:11], v[8:9], -v[16:17]
	v_mul_f64_e32 v[12:13], v[4:5], v[8:9]
	s_delay_alu instid0(VALU_DEP_2) | instskip(NEXT) | instid1(VALU_DEP_2)
	v_add_f64_e64 v[6:7], v[6:7], -v[10:11]
	v_fma_f64 v[8:9], v[4:5], v[8:9], -v[12:13]
	v_cmp_class_f64_e64 vcc_lo, v[12:13], 0x204
	s_delay_alu instid0(VALU_DEP_2) | instskip(NEXT) | instid1(VALU_DEP_1)
	v_fmac_f64_e32 v[8:9], v[4:5], v[6:7]
	v_add_f64_e32 v[6:7], v[12:13], v[8:9]
	s_delay_alu instid0(VALU_DEP_1) | instskip(SKIP_1) | instid1(VALU_DEP_2)
	v_dual_cndmask_b32 v11, v7, v13 :: v_dual_cndmask_b32 v10, v6, v12
	v_add_f64_e64 v[6:7], v[6:7], -v[12:13]
	v_mul_f64_e32 v[14:15], 0x3ff71547652b82fe, v[10:11]
	v_cmp_nlt_f64_e64 s0, 0x40900000, v[10:11]
	v_cmp_neq_f64_e64 vcc_lo, 0x7ff00000, |v[10:11]|
	v_cmp_ngt_f64_e64 s1, 0xc090cc00, v[10:11]
	v_add_f64_e64 v[6:7], v[8:9], -v[6:7]
	v_rndne_f64_e32 v[14:15], v[14:15]
	s_delay_alu instid0(VALU_DEP_2) | instskip(SKIP_1) | instid1(VALU_DEP_2)
	v_dual_cndmask_b32 v7, 0, v7 :: v_dual_cndmask_b32 v6, 0, v6
	s_and_b32 vcc_lo, s1, s0
	v_fmamk_f64 v[16:17], v[14:15], 0xbfe62e42fefa39ef, v[10:11]
	v_cvt_i32_f64_e32 v1, v[14:15]
	s_delay_alu instid0(VALU_DEP_2) | instskip(NEXT) | instid1(VALU_DEP_1)
	v_fmac_f64_e32 v[16:17], 0xbc7abc9e3b39803f, v[14:15]
	v_fmamk_f64 v[20:21], v[16:17], 0x3e5ade156a5dcb37, v[104:105]
	s_delay_alu instid0(VALU_DEP_1) | instskip(NEXT) | instid1(VALU_DEP_1)
	v_fmaak_f64 v[20:21], v[16:17], v[20:21], 0x3ec71dee623fde64
	v_fmaak_f64 v[20:21], v[16:17], v[20:21], 0x3efa01997c89e6b0
	s_delay_alu instid0(VALU_DEP_1) | instskip(NEXT) | instid1(VALU_DEP_1)
	v_fmaak_f64 v[20:21], v[16:17], v[20:21], 0x3f2a01a014761f6e
	v_fmaak_f64 v[20:21], v[16:17], v[20:21], 0x3f56c16c1852b7b0
	s_delay_alu instid0(VALU_DEP_1) | instskip(NEXT) | instid1(VALU_DEP_1)
	v_fmaak_f64 v[20:21], v[16:17], v[20:21], 0x3f81111111122322
	v_fmaak_f64 v[20:21], v[16:17], v[20:21], 0x3fa55555555502a1
	s_delay_alu instid0(VALU_DEP_1) | instskip(NEXT) | instid1(VALU_DEP_1)
	v_fmaak_f64 v[20:21], v[16:17], v[20:21], 0x3fc5555555555511
	v_fmaak_f64 v[20:21], v[16:17], v[20:21], 0x3fe000000000000b
	s_delay_alu instid0(VALU_DEP_1) | instskip(NEXT) | instid1(VALU_DEP_1)
	v_fma_f64 v[20:21], v[16:17], v[20:21], 1.0
	v_fma_f64 v[14:15], v[16:17], v[20:21], 1.0
	v_trunc_f64_e32 v[16:17], v[4:5]
	s_delay_alu instid0(VALU_DEP_2) | instskip(SKIP_1) | instid1(VALU_DEP_3)
	v_ldexp_f64 v[12:13], v[14:15], v1
	v_mul_f64_e32 v[14:15], 0.5, v[4:5]
	v_cmp_eq_f64_e64 s2, v[16:17], v[4:5]
	s_delay_alu instid0(VALU_DEP_3) | instskip(NEXT) | instid1(VALU_DEP_3)
	v_cndmask_b32_e64 v1, 0x7ff00000, v13, s0
	v_trunc_f64_e32 v[8:9], v[14:15]
	v_cmp_gt_f64_e64 s0, 0, v[4:5]
	s_delay_alu instid0(VALU_DEP_2) | instskip(NEXT) | instid1(VALU_DEP_4)
	v_cmp_neq_f64_e64 s3, v[8:9], v[14:15]
	v_dual_cndmask_b32 v9, 0, v1, s1 :: v_dual_cndmask_b32 v8, 0, v12, vcc_lo
	v_cmp_eq_f64_e64 s1, 0, v[2:3]
	s_delay_alu instid0(VALU_DEP_2) | instskip(SKIP_2) | instid1(SALU_CYCLE_1)
	v_fma_f64 v[6:7], v[8:9], v[6:7], v[8:9]
	v_cmp_class_f64_e64 vcc_lo, v[8:9], 0x204
	s_and_b32 s3, s2, s3
	v_cndmask_b32_e64 v1, 0x3ff00000, v3, s3
	s_xor_b32 s0, s0, s1
	v_dual_cndmask_b32 v5, v7, v9 :: v_dual_cndmask_b32 v4, v6, v8
	v_cmp_gt_f64_e32 vcc_lo, 0, v[2:3]
	v_cndmask_b32_e64 v7, 0x7ff00000, 0, s0
	v_cndmask_b32_e64 v8, 0, v3, s3
	s_delay_alu instid0(VALU_DEP_4) | instskip(SKIP_1) | instid1(VALU_DEP_3)
	v_bfi_b32 v1, 0x7fffffff, v5, v1
	v_cndmask_b32_e64 v6, 0, v4, s2
	v_bfi_b32 v7, 0x7fffffff, v7, v8
	s_delay_alu instid0(VALU_DEP_3) | instskip(SKIP_1) | instid1(VALU_DEP_2)
	v_cndmask_b32_e64 v5, 0x7ff80000, v1, s2
	v_cmp_class_f64_e64 s2, v[2:3], 0x204
	v_dual_cndmask_b32 v4, v4, v6 :: v_dual_cndmask_b32 v1, v1, v5
	s_or_b32 vcc_lo, s1, s2
	s_delay_alu instid0(VALU_DEP_1) | instskip(NEXT) | instid1(VALU_DEP_2)
	v_cndmask_b32_e32 v5, v1, v7, vcc_lo
	v_cndmask_b32_e64 v4, v4, 0, vcc_lo
	v_cmp_o_f64_e32 vcc_lo, v[2:3], v[2:3]
	v_cvt_f64_i32_e32 v[0:1], v0
	s_delay_alu instid0(VALU_DEP_3) | instskip(SKIP_2) | instid1(VALU_DEP_2)
	v_cndmask_b32_e32 v2, 0, v4, vcc_lo
	v_cndmask_b32_e32 v3, 0x7ff80000, v5, vcc_lo
	v_cmp_eq_u32_e32 vcc_lo, -1, v108
	v_mul_f64_e32 v[0:1], v[2:3], v[0:1]
	s_or_b32 s100, vcc_lo, s100
	s_wait_loadcnt 0x0
	s_delay_alu instid0(VALU_DEP_1)
	v_fmac_f64_e32 v[106:107], v[18:19], v[0:1]
	s_and_not1_b32 exec_lo, exec_lo, s100
	s_cbranch_execnz .LBB0_246
; %bb.247:                              ;   in Loop: Header=BB0_244 Depth=2
	s_or_b32 exec_lo, exec_lo, s100
	s_branch .LBB0_243
.LBB0_248:                              ;   in Loop: Header=BB0_225 Depth=1
	s_or_b32 exec_lo, exec_lo, s96
.LBB0_249:                              ;   in Loop: Header=BB0_225 Depth=1
	s_delay_alu instid0(SALU_CYCLE_1) | instskip(SKIP_3) | instid1(VALU_DEP_1)
	s_or_b32 exec_lo, exec_lo, s84
	scratch_load_b64 v[0:1], off, s33 offset:820 ; 8-byte Folded Reload
	s_wait_loadcnt 0x0
	v_mul_f64_e32 v[0:1], v[0:1], v[62:63]
	v_add_f64_e32 v[2:3], v[0:1], v[0:1]
	scratch_load_b64 v[0:1], off, s33 offset:788 ; 8-byte Folded Reload
	s_wait_loadcnt 0x0
	v_fmac_f64_e32 v[2:3], v[0:1], v[88:89]
	scratch_load_b64 v[0:1], off, s33 offset:712 ; 8-byte Folded Reload
	s_wait_loadcnt 0x0
	scratch_store_b64 off, v[0:1], s33 offset:320
	s_wait_xcnt 0x0
	s_mov_b32 s0, exec_lo
	v_readlane_b32 s1, v125, 8
	s_and_b32 s1, s0, s1
	s_delay_alu instid0(SALU_CYCLE_1)
	s_mov_b32 exec_lo, s1
	s_cbranch_execz .LBB0_251
; %bb.250:                              ;   in Loop: Header=BB0_225 Depth=1
	scratch_load_b64 v[0:1], off, s33 offset:712 ; 8-byte Folded Reload
	s_wait_loadcnt 0x0
	v_mul_f64_e32 v[0:1], v[0:1], v[2:3]
	scratch_store_b64 off, v[0:1], s33 offset:376
.LBB0_251:                              ;   in Loop: Header=BB0_225 Depth=1
	s_wait_xcnt 0x0
	s_or_b32 exec_lo, exec_lo, s0
	s_clause 0x1
	scratch_load_b64 v[0:1], off, s33 offset:828
	scratch_load_b64 v[4:5], off, s33 offset:764
	s_wait_loadcnt 0x1
	v_mul_f64_e32 v[0:1], v[0:1], v[62:63]
	s_delay_alu instid0(VALU_DEP_1) | instskip(SKIP_1) | instid1(VALU_DEP_1)
	v_add_f64_e32 v[0:1], v[0:1], v[0:1]
	s_wait_loadcnt 0x0
	v_fmac_f64_e32 v[0:1], v[4:5], v[88:89]
	s_wait_xcnt 0x0
	s_mov_b32 s0, exec_lo
	v_readlane_b32 s1, v125, 9
	s_and_b32 s1, s0, s1
	s_delay_alu instid0(SALU_CYCLE_1)
	s_mov_b32 exec_lo, s1
	s_cbranch_execz .LBB0_253
; %bb.252:                              ;   in Loop: Header=BB0_225 Depth=1
	scratch_load_b64 v[4:5], off, s33 offset:712 ; 8-byte Folded Reload
	s_wait_loadcnt 0x0
	v_mul_f64_e32 v[4:5], v[4:5], v[0:1]
	scratch_store_b64 off, v[4:5], s33 offset:328
.LBB0_253:                              ;   in Loop: Header=BB0_225 Depth=1
	s_wait_xcnt 0x0
	s_or_b32 exec_lo, exec_lo, s0
	s_delay_alu instid0(SALU_CYCLE_1) | instskip(SKIP_2) | instid1(SALU_CYCLE_1)
	s_mov_b32 s0, exec_lo
	v_readlane_b32 s1, v125, 7
	s_and_b32 s1, s0, s1
	s_mov_b32 exec_lo, s1
	s_cbranch_execz .LBB0_256
; %bb.254:                              ;   in Loop: Header=BB0_225 Depth=1
	scratch_load_b64 v[4:5], off, s33 offset:376
	v_readlane_b32 s3, v125, 17
	s_mov_b32 s1, 1
	s_mov_b32 s2, 0
.LBB0_255:                              ;   Parent Loop BB0_225 Depth=1
                                        ; =>  This Inner Loop Header: Depth=2
	scratch_load_b64 v[6:7], off, s3 offset:-112
	v_cvt_f64_i32_e32 v[8:9], s1
	s_add_co_i32 s1, s1, 1
	s_delay_alu instid0(SALU_CYCLE_1) | instskip(NEXT) | instid1(VALU_DEP_2)
	v_cmp_eq_u32_e32 vcc_lo, s1, v120
	v_mul_f64_e32 v[8:9], v[78:79], v[8:9]
	s_wait_loadcnt 0x0
	s_delay_alu instid0(VALU_DEP_1) | instskip(NEXT) | instid1(VALU_DEP_1)
	v_mul_f64_e32 v[6:7], v[6:7], v[8:9]
	v_fmac_f64_e32 v[6:7], v[2:3], v[4:5]
	s_delay_alu instid0(VALU_DEP_1) | instskip(SKIP_4) | instid1(SALU_CYCLE_1)
	v_mov_b64_e32 v[4:5], v[6:7]
	scratch_store_b64 off, v[6:7], s3
	s_wait_xcnt 0x0
	s_add_co_i32 s3, s3, 56
	s_or_b32 s2, vcc_lo, s2
	s_and_not1_b32 exec_lo, exec_lo, s2
	s_cbranch_execnz .LBB0_255
.LBB0_256:                              ;   in Loop: Header=BB0_225 Depth=1
	s_or_b32 exec_lo, exec_lo, s0
	s_and_saveexec_b32 s0, s85
	s_cbranch_execz .LBB0_259
; %bb.257:                              ;   in Loop: Header=BB0_225 Depth=1
	scratch_load_b64 v[2:3], off, s33 offset:328
	v_readlane_b32 s3, v125, 18
	s_mov_b32 s1, 1
	s_mov_b32 s2, 0
.LBB0_258:                              ;   Parent Loop BB0_225 Depth=1
                                        ; =>  This Inner Loop Header: Depth=2
	scratch_load_b64 v[4:5], off, s3 offset:-16
	v_cvt_f64_i32_e32 v[6:7], s1
	s_add_co_i32 s1, s1, 1
	s_delay_alu instid0(SALU_CYCLE_1) | instskip(NEXT) | instid1(VALU_DEP_2)
	v_cmp_eq_u32_e32 vcc_lo, s1, v121
	v_mul_f64_e32 v[6:7], v[74:75], v[6:7]
	s_wait_loadcnt 0x0
	s_delay_alu instid0(VALU_DEP_1) | instskip(NEXT) | instid1(VALU_DEP_1)
	v_mul_f64_e32 v[4:5], v[4:5], v[6:7]
	v_fmac_f64_e32 v[4:5], v[0:1], v[2:3]
	s_delay_alu instid0(VALU_DEP_1) | instskip(SKIP_4) | instid1(SALU_CYCLE_1)
	v_mov_b64_e32 v[2:3], v[4:5]
	scratch_store_b64 off, v[4:5], s3
	s_wait_xcnt 0x0
	s_add_co_i32 s3, s3, 8
	s_or_b32 s2, vcc_lo, s2
	s_and_not1_b32 exec_lo, exec_lo, s2
	s_cbranch_execnz .LBB0_258
.LBB0_259:                              ;   in Loop: Header=BB0_225 Depth=1
	s_or_b32 exec_lo, exec_lo, s0
	s_delay_alu instid0(SALU_CYCLE_1) | instskip(SKIP_2) | instid1(SALU_CYCLE_1)
	s_mov_b32 s0, exec_lo
	v_readlane_b32 s1, v125, 10
	s_and_b32 s1, s0, s1
	s_mov_b32 exec_lo, s1
	s_cbranch_execz .LBB0_265
; %bb.260:                              ;   in Loop: Header=BB0_225 Depth=1
	v_mov_b64_e32 v[2:3], 1.0
	v_readlane_b32 s2, v125, 1
	s_mov_b32 s3, 1
	s_mov_b32 s1, 0
	s_branch .LBB0_262
.LBB0_261:                              ;   in Loop: Header=BB0_262 Depth=2
	s_or_b32 exec_lo, exec_lo, s4
	v_add_f64_e32 v[2:3], 1.0, v[2:3]
	v_cmp_eq_u32_e32 vcc_lo, s3, v120
	s_add_co_i32 s3, s3, 1
	s_add_co_i32 s2, s2, 56
	s_or_b32 s1, vcc_lo, s1
	s_delay_alu instid0(SALU_CYCLE_1)
	s_and_not1_b32 exec_lo, exec_lo, s1
	s_cbranch_execz .LBB0_265
.LBB0_262:                              ;   Parent Loop BB0_225 Depth=1
                                        ; =>  This Loop Header: Depth=2
                                        ;       Child Loop BB0_264 Depth 3
	s_mul_i32 s4, s3, 56
	s_delay_alu instid0(VALU_DEP_2) | instskip(SKIP_1) | instid1(SALU_CYCLE_1)
	v_mul_f64_e32 v[4:5], v[62:63], v[2:3]
	s_add_co_i32 s5, s33, s4
	s_add_co_i32 s4, s5, 0x140
	s_clause 0x1
	scratch_load_b64 v[6:7], off, s4
	scratch_load_b64 v[8:9], off, s4 offset:-56
	s_wait_loadcnt 0x1
	v_mul_f64_e32 v[6:7], v[0:1], v[6:7]
	s_wait_loadcnt 0x0
	s_delay_alu instid0(VALU_DEP_1)
	v_fmac_f64_e32 v[6:7], v[8:9], v[4:5]
	scratch_store_b64 off, v[6:7], s4 offset:8
	s_wait_xcnt 0x0
	s_and_saveexec_b32 s4, s85
	s_cbranch_execz .LBB0_261
; %bb.263:                              ;   in Loop: Header=BB0_262 Depth=2
	s_mov_b32 s5, 1
	s_mov_b32 s6, 0
	;; [unrolled: 1-line block ×3, first 2 shown]
.LBB0_264:                              ;   Parent Loop BB0_225 Depth=1
                                        ;     Parent Loop BB0_262 Depth=2
                                        ; =>    This Inner Loop Header: Depth=3
	s_clause 0x1
	scratch_load_b64 v[8:9], off, s7
	scratch_load_b64 v[10:11], off, s7 offset:-48
	v_cvt_f64_i32_e32 v[12:13], s5
	s_add_co_i32 s5, s5, 1
	s_delay_alu instid0(SALU_CYCLE_1) | instskip(NEXT) | instid1(VALU_DEP_2)
	v_cmp_eq_u32_e32 vcc_lo, s5, v121
	v_mul_f64_e32 v[12:13], v[74:75], v[12:13]
	s_wait_loadcnt 0x1
	s_delay_alu instid0(VALU_DEP_1) | instskip(SKIP_1) | instid1(VALU_DEP_1)
	v_mul_f64_e32 v[8:9], v[8:9], v[12:13]
	s_wait_loadcnt 0x0
	v_fmac_f64_e32 v[8:9], v[4:5], v[10:11]
	s_delay_alu instid0(VALU_DEP_1) | instskip(NEXT) | instid1(VALU_DEP_1)
	v_fmac_f64_e32 v[8:9], v[0:1], v[6:7]
	v_mov_b64_e32 v[6:7], v[8:9]
	scratch_store_b64 off, v[8:9], s7 offset:16
	s_wait_xcnt 0x0
	s_add_co_i32 s7, s7, 8
	s_or_b32 s6, vcc_lo, s6
	s_delay_alu instid0(SALU_CYCLE_1)
	s_and_not1_b32 exec_lo, exec_lo, s6
	s_cbranch_execnz .LBB0_264
	s_branch .LBB0_261
.LBB0_265:                              ;   in Loop: Header=BB0_225 Depth=1
	s_or_b32 exec_lo, exec_lo, s0
	v_mov_b64_e32 v[106:107], 0
	s_mov_b32 s84, exec_lo
	v_readlane_b32 s0, v125, 11
	s_and_b32 s0, s84, s0
	s_delay_alu instid0(SALU_CYCLE_1)
	s_mov_b32 exec_lo, s0
	s_cbranch_execz .LBB0_273
; %bb.266:                              ;   in Loop: Header=BB0_225 Depth=1
	scratch_load_b32 v44, off, s33 offset:884 ; 4-byte Folded Reload
	v_mov_b64_e32 v[106:107], 0
	s_mov_b32 s96, 0
	s_mov_b32 s97, 0
	s_branch .LBB0_268
.LBB0_267:                              ;   in Loop: Header=BB0_268 Depth=2
	s_or_b32 exec_lo, exec_lo, s98
	v_dual_mov_b32 v31, v40 :: v_dual_mov_b32 v0, v45
	v_mov_b32_e32 v1, s97
	s_mov_b64 s[4:5], s[48:49]
	s_mov_b64 s[6:7], s[38:39]
	;; [unrolled: 1-line block ×4, first 2 shown]
	s_mov_b32 s12, s53
	s_mov_b32 s13, s52
	;; [unrolled: 1-line block ×4, first 2 shown]
	s_swap_pc_i64 s[30:31], s[68:69]
	v_subrev_nc_u32_e32 v1, s97, v45
	v_add_nc_u32_e32 v44, 8, v44
	s_delay_alu instid0(VALU_DEP_2) | instskip(NEXT) | instid1(VALU_DEP_1)
	v_cvt_f64_i32_e32 v[2:3], v1
	v_cndmask_b32_e64 v5, v3, 0x3ff00000, s81
	s_delay_alu instid0(VALU_DEP_2) | instskip(NEXT) | instid1(VALU_DEP_1)
	v_cndmask_b32_e64 v4, v2, 0, s81
	v_cmp_neq_f64_e32 vcc_lo, 0, v[4:5]
	v_cndmask_b32_e32 v3, 0x3ff00000, v61, vcc_lo
	v_cndmask_b32_e32 v2, 0, v60, vcc_lo
	s_delay_alu instid0(VALU_DEP_1) | instskip(NEXT) | instid1(VALU_DEP_1)
	v_frexp_mant_f64_e64 v[6:7], |v[2:3]|
	v_cmp_gt_f64_e32 vcc_lo, s[102:103], v[6:7]
	v_cndmask_b32_e64 v1, 0, 1, vcc_lo
	s_delay_alu instid0(VALU_DEP_1) | instskip(NEXT) | instid1(VALU_DEP_1)
	v_ldexp_f64 v[6:7], v[6:7], v1
	v_add_f64_e32 v[8:9], 1.0, v[6:7]
	v_add_f64_e32 v[14:15], -1.0, v[6:7]
	v_frexp_exp_i32_f64_e32 v1, v[2:3]
	v_cmp_eq_f64_e64 s2, 0, v[2:3]
	v_cmp_class_f64_e64 s3, v[2:3], 0x204
	v_rcp_f64_e32 v[10:11], v[8:9]
	v_add_f64_e32 v[16:17], -1.0, v[8:9]
	s_delay_alu instid0(VALU_DEP_4) | instskip(NEXT) | instid1(VALU_DEP_2)
	v_subrev_co_ci_u32_e64 v1, null, 0, v1, vcc_lo
	v_add_f64_e64 v[6:7], v[6:7], -v[16:17]
	s_delay_alu instid0(TRANS32_DEP_1) | instskip(NEXT) | instid1(VALU_DEP_1)
	v_fma_f64 v[12:13], -v[8:9], v[10:11], 1.0
	v_fmac_f64_e32 v[10:11], v[12:13], v[10:11]
	s_delay_alu instid0(VALU_DEP_1) | instskip(NEXT) | instid1(VALU_DEP_1)
	v_fma_f64 v[12:13], -v[8:9], v[10:11], 1.0
	v_fmac_f64_e32 v[10:11], v[12:13], v[10:11]
	s_delay_alu instid0(VALU_DEP_1) | instskip(NEXT) | instid1(VALU_DEP_1)
	v_mul_f64_e32 v[12:13], v[14:15], v[10:11]
	v_mul_f64_e32 v[18:19], v[8:9], v[12:13]
	s_delay_alu instid0(VALU_DEP_1) | instskip(NEXT) | instid1(VALU_DEP_1)
	v_fma_f64 v[8:9], v[12:13], v[8:9], -v[18:19]
	v_fmac_f64_e32 v[8:9], v[12:13], v[6:7]
	s_delay_alu instid0(VALU_DEP_1) | instskip(NEXT) | instid1(VALU_DEP_1)
	v_add_f64_e32 v[6:7], v[18:19], v[8:9]
	v_add_f64_e64 v[16:17], v[14:15], -v[6:7]
	v_add_f64_e64 v[18:19], v[6:7], -v[18:19]
	s_delay_alu instid0(VALU_DEP_2) | instskip(NEXT) | instid1(VALU_DEP_2)
	v_add_f64_e64 v[14:15], v[14:15], -v[16:17]
	v_add_f64_e64 v[8:9], v[18:19], -v[8:9]
	s_delay_alu instid0(VALU_DEP_2) | instskip(NEXT) | instid1(VALU_DEP_1)
	v_add_f64_e64 v[6:7], v[14:15], -v[6:7]
	v_add_f64_e32 v[6:7], v[8:9], v[6:7]
	s_delay_alu instid0(VALU_DEP_1) | instskip(NEXT) | instid1(VALU_DEP_1)
	v_add_f64_e32 v[6:7], v[16:17], v[6:7]
	v_mul_f64_e32 v[6:7], v[10:11], v[6:7]
	s_delay_alu instid0(VALU_DEP_1) | instskip(NEXT) | instid1(VALU_DEP_1)
	v_add_f64_e32 v[8:9], v[12:13], v[6:7]
	v_add_f64_e64 v[10:11], v[8:9], -v[12:13]
	v_mul_f64_e32 v[12:13], v[8:9], v[8:9]
	s_delay_alu instid0(VALU_DEP_2) | instskip(NEXT) | instid1(VALU_DEP_2)
	v_add_f64_e64 v[6:7], v[6:7], -v[10:11]
	v_fma_f64 v[10:11], v[8:9], v[8:9], -v[12:13]
	s_delay_alu instid0(VALU_DEP_2) | instskip(NEXT) | instid1(VALU_DEP_1)
	v_add_f64_e32 v[14:15], v[6:7], v[6:7]
	v_fmac_f64_e32 v[10:11], v[8:9], v[14:15]
	s_delay_alu instid0(VALU_DEP_1) | instskip(NEXT) | instid1(VALU_DEP_1)
	v_add_f64_e32 v[14:15], v[12:13], v[10:11]
	v_fmamk_f64 v[16:17], v[14:15], 0x3fbdee674222de17, v[90:91]
	v_add_f64_e64 v[12:13], v[14:15], -v[12:13]
	v_mul_f64_e32 v[22:23], v[8:9], v[14:15]
	s_delay_alu instid0(VALU_DEP_3) | instskip(NEXT) | instid1(VALU_DEP_1)
	v_fmaak_f64 v[16:17], v[14:15], v[16:17], 0x3fbe25e43abe935a
	v_fmaak_f64 v[16:17], v[14:15], v[16:17], 0x3fc110ef47e6c9c2
	s_delay_alu instid0(VALU_DEP_1) | instskip(NEXT) | instid1(VALU_DEP_1)
	v_fmaak_f64 v[16:17], v[14:15], v[16:17], 0x3fc3b13bcfa74449
	v_fmaak_f64 v[16:17], v[14:15], v[16:17], 0x3fc745d171bf3c30
	v_add_f64_e64 v[10:11], v[10:11], -v[12:13]
	s_delay_alu instid0(VALU_DEP_2) | instskip(NEXT) | instid1(VALU_DEP_1)
	v_fmaak_f64 v[16:17], v[14:15], v[16:17], 0x3fcc71c71c7792ce
	v_fmaak_f64 v[16:17], v[14:15], v[16:17], 0x3fd24924924920da
	s_delay_alu instid0(VALU_DEP_1) | instskip(NEXT) | instid1(VALU_DEP_1)
	v_fmaak_f64 v[16:17], v[14:15], v[16:17], 0x3fd999999999999c
	v_mul_f64_e32 v[18:19], v[14:15], v[16:17]
	s_delay_alu instid0(VALU_DEP_1) | instskip(NEXT) | instid1(VALU_DEP_1)
	v_fma_f64 v[12:13], v[14:15], v[16:17], -v[18:19]
	v_fmac_f64_e32 v[12:13], v[10:11], v[16:17]
	s_delay_alu instid0(VALU_DEP_1) | instskip(NEXT) | instid1(VALU_DEP_1)
	v_add_f64_e32 v[16:17], v[18:19], v[12:13]
	v_add_f64_e32 v[20:21], 0x3fe5555555555555, v[16:17]
	v_add_f64_e64 v[18:19], v[16:17], -v[18:19]
	s_delay_alu instid0(VALU_DEP_2) | instskip(NEXT) | instid1(VALU_DEP_2)
	v_add_f64_e32 v[24:25], 0xbfe5555555555555, v[20:21]
	v_add_f64_e64 v[12:13], v[12:13], -v[18:19]
	v_fma_f64 v[18:19], v[14:15], v[8:9], -v[22:23]
	s_delay_alu instid0(VALU_DEP_3) | instskip(NEXT) | instid1(VALU_DEP_3)
	v_add_f64_e64 v[16:17], v[16:17], -v[24:25]
	v_add_f64_e32 v[12:13], 0x3c8543b0d5df274d, v[12:13]
	s_delay_alu instid0(VALU_DEP_3) | instskip(SKIP_1) | instid1(VALU_DEP_3)
	v_fmac_f64_e32 v[18:19], v[14:15], v[6:7]
	v_ldexp_f64 v[6:7], v[6:7], 1
	v_add_f64_e32 v[12:13], v[12:13], v[16:17]
	s_delay_alu instid0(VALU_DEP_3) | instskip(SKIP_1) | instid1(VALU_DEP_3)
	v_fmac_f64_e32 v[18:19], v[10:11], v[8:9]
	v_ldexp_f64 v[8:9], v[8:9], 1
	v_add_f64_e32 v[10:11], v[20:21], v[12:13]
	s_delay_alu instid0(VALU_DEP_3) | instskip(NEXT) | instid1(VALU_DEP_2)
	v_add_f64_e32 v[14:15], v[22:23], v[18:19]
	v_add_f64_e64 v[16:17], v[20:21], -v[10:11]
	s_delay_alu instid0(VALU_DEP_2) | instskip(SKIP_1) | instid1(VALU_DEP_3)
	v_mul_f64_e32 v[20:21], v[14:15], v[10:11]
	v_add_f64_e64 v[22:23], v[14:15], -v[22:23]
	v_add_f64_e32 v[12:13], v[12:13], v[16:17]
	s_delay_alu instid0(VALU_DEP_3) | instskip(NEXT) | instid1(VALU_DEP_3)
	v_fma_f64 v[16:17], v[14:15], v[10:11], -v[20:21]
	v_add_f64_e64 v[18:19], v[18:19], -v[22:23]
	s_delay_alu instid0(VALU_DEP_2) | instskip(SKIP_1) | instid1(VALU_DEP_2)
	v_fmac_f64_e32 v[16:17], v[14:15], v[12:13]
	v_cvt_f64_i32_e32 v[12:13], v1
	v_fmac_f64_e32 v[16:17], v[18:19], v[10:11]
	s_delay_alu instid0(VALU_DEP_1) | instskip(NEXT) | instid1(VALU_DEP_1)
	v_add_f64_e32 v[10:11], v[20:21], v[16:17]
	v_add_f64_e32 v[14:15], v[8:9], v[10:11]
	v_add_f64_e64 v[18:19], v[10:11], -v[20:21]
	v_mul_f64_e32 v[20:21], 0x3fe62e42fefa39ef, v[12:13]
	s_delay_alu instid0(VALU_DEP_3) | instskip(NEXT) | instid1(VALU_DEP_3)
	v_add_f64_e64 v[8:9], v[14:15], -v[8:9]
	v_add_f64_e64 v[16:17], v[16:17], -v[18:19]
	s_delay_alu instid0(VALU_DEP_3) | instskip(NEXT) | instid1(VALU_DEP_3)
	v_fma_f64 v[18:19], v[12:13], s[64:65], -v[20:21]
	v_add_f64_e64 v[8:9], v[10:11], -v[8:9]
	s_delay_alu instid0(VALU_DEP_3) | instskip(NEXT) | instid1(VALU_DEP_3)
	v_add_f64_e32 v[6:7], v[6:7], v[16:17]
	v_fmac_f64_e32 v[18:19], 0x3c7abc9e3b39803f, v[12:13]
	s_delay_alu instid0(VALU_DEP_2) | instskip(NEXT) | instid1(VALU_DEP_2)
	v_add_f64_e32 v[6:7], v[6:7], v[8:9]
	v_add_f64_e32 v[8:9], v[20:21], v[18:19]
	s_delay_alu instid0(VALU_DEP_2) | instskip(NEXT) | instid1(VALU_DEP_2)
	v_add_f64_e32 v[10:11], v[14:15], v[6:7]
	v_add_f64_e64 v[20:21], v[8:9], -v[20:21]
	s_delay_alu instid0(VALU_DEP_2) | instskip(SKIP_1) | instid1(VALU_DEP_3)
	v_add_f64_e32 v[12:13], v[8:9], v[10:11]
	v_add_f64_e64 v[14:15], v[10:11], -v[14:15]
	v_add_f64_e64 v[18:19], v[18:19], -v[20:21]
	s_delay_alu instid0(VALU_DEP_3) | instskip(NEXT) | instid1(VALU_DEP_3)
	v_add_f64_e64 v[16:17], v[12:13], -v[8:9]
	v_add_f64_e64 v[6:7], v[6:7], -v[14:15]
	s_delay_alu instid0(VALU_DEP_2) | instskip(SKIP_1) | instid1(VALU_DEP_3)
	v_add_f64_e64 v[22:23], v[12:13], -v[16:17]
	v_add_f64_e64 v[10:11], v[10:11], -v[16:17]
	v_add_f64_e32 v[14:15], v[18:19], v[6:7]
	s_delay_alu instid0(VALU_DEP_3) | instskip(NEXT) | instid1(VALU_DEP_1)
	v_add_f64_e64 v[8:9], v[8:9], -v[22:23]
	v_add_f64_e32 v[8:9], v[10:11], v[8:9]
	s_delay_alu instid0(VALU_DEP_3) | instskip(NEXT) | instid1(VALU_DEP_2)
	v_add_f64_e64 v[10:11], v[14:15], -v[18:19]
	v_add_f64_e32 v[8:9], v[14:15], v[8:9]
	s_delay_alu instid0(VALU_DEP_2) | instskip(SKIP_1) | instid1(VALU_DEP_3)
	v_add_f64_e64 v[14:15], v[14:15], -v[10:11]
	v_add_f64_e64 v[6:7], v[6:7], -v[10:11]
	v_add_f64_e32 v[16:17], v[12:13], v[8:9]
	s_delay_alu instid0(VALU_DEP_3) | instskip(NEXT) | instid1(VALU_DEP_2)
	v_add_f64_e64 v[10:11], v[18:19], -v[14:15]
	v_add_f64_e64 v[12:13], v[16:17], -v[12:13]
	s_delay_alu instid0(VALU_DEP_2) | instskip(NEXT) | instid1(VALU_DEP_2)
	v_add_f64_e32 v[6:7], v[6:7], v[10:11]
	v_add_f64_e64 v[8:9], v[8:9], -v[12:13]
	s_delay_alu instid0(VALU_DEP_1) | instskip(NEXT) | instid1(VALU_DEP_1)
	v_add_f64_e32 v[6:7], v[6:7], v[8:9]
	v_add_f64_e32 v[8:9], v[16:17], v[6:7]
	s_delay_alu instid0(VALU_DEP_1) | instskip(SKIP_1) | instid1(VALU_DEP_2)
	v_add_f64_e64 v[10:11], v[8:9], -v[16:17]
	v_mul_f64_e32 v[12:13], v[4:5], v[8:9]
	v_add_f64_e64 v[6:7], v[6:7], -v[10:11]
	s_delay_alu instid0(VALU_DEP_2) | instskip(SKIP_1) | instid1(VALU_DEP_2)
	v_fma_f64 v[8:9], v[4:5], v[8:9], -v[12:13]
	v_cmp_class_f64_e64 vcc_lo, v[12:13], 0x204
	v_fmac_f64_e32 v[8:9], v[4:5], v[6:7]
	s_delay_alu instid0(VALU_DEP_1) | instskip(NEXT) | instid1(VALU_DEP_1)
	v_add_f64_e32 v[6:7], v[12:13], v[8:9]
	v_dual_cndmask_b32 v11, v7, v13 :: v_dual_cndmask_b32 v10, v6, v12
	v_add_f64_e64 v[6:7], v[6:7], -v[12:13]
	s_delay_alu instid0(VALU_DEP_2)
	v_mul_f64_e32 v[14:15], 0x3ff71547652b82fe, v[10:11]
	v_cmp_nlt_f64_e64 s0, 0x40900000, v[10:11]
	v_cmp_neq_f64_e64 vcc_lo, 0x7ff00000, |v[10:11]|
	v_cmp_ngt_f64_e64 s1, 0xc090cc00, v[10:11]
	v_add_f64_e64 v[6:7], v[8:9], -v[6:7]
	v_trunc_f64_e32 v[8:9], v[4:5]
	v_rndne_f64_e32 v[14:15], v[14:15]
	s_delay_alu instid0(VALU_DEP_3) | instskip(SKIP_1) | instid1(VALU_DEP_2)
	v_dual_cndmask_b32 v7, 0, v7 :: v_dual_cndmask_b32 v6, 0, v6
	s_and_b32 vcc_lo, s1, s0
	v_fmamk_f64 v[16:17], v[14:15], 0xbfe62e42fefa39ef, v[10:11]
	v_cvt_i32_f64_e32 v1, v[14:15]
	s_delay_alu instid0(VALU_DEP_2) | instskip(NEXT) | instid1(VALU_DEP_1)
	v_fmac_f64_e32 v[16:17], 0xbc7abc9e3b39803f, v[14:15]
	v_fmamk_f64 v[18:19], v[16:17], 0x3e5ade156a5dcb37, v[104:105]
	s_delay_alu instid0(VALU_DEP_1) | instskip(NEXT) | instid1(VALU_DEP_1)
	v_fmaak_f64 v[18:19], v[16:17], v[18:19], 0x3ec71dee623fde64
	v_fmaak_f64 v[18:19], v[16:17], v[18:19], 0x3efa01997c89e6b0
	s_delay_alu instid0(VALU_DEP_1) | instskip(NEXT) | instid1(VALU_DEP_1)
	v_fmaak_f64 v[18:19], v[16:17], v[18:19], 0x3f2a01a014761f6e
	v_fmaak_f64 v[18:19], v[16:17], v[18:19], 0x3f56c16c1852b7b0
	;; [unrolled: 3-line block ×4, first 2 shown]
	s_delay_alu instid0(VALU_DEP_1) | instskip(NEXT) | instid1(VALU_DEP_1)
	v_fma_f64 v[18:19], v[16:17], v[18:19], 1.0
	v_fma_f64 v[14:15], v[16:17], v[18:19], 1.0
	s_delay_alu instid0(VALU_DEP_1) | instskip(SKIP_1) | instid1(VALU_DEP_2)
	v_ldexp_f64 v[12:13], v[14:15], v1
	v_mul_f64_e32 v[14:15], 0.5, v[4:5]
	v_cndmask_b32_e64 v1, 0x7ff00000, v13, s0
	s_delay_alu instid0(VALU_DEP_2) | instskip(NEXT) | instid1(VALU_DEP_4)
	v_trunc_f64_e32 v[10:11], v[14:15]
	v_cndmask_b32_e32 v12, 0, v12, vcc_lo
	v_cmp_eq_f64_e32 vcc_lo, v[8:9], v[4:5]
	s_delay_alu instid0(VALU_DEP_4) | instskip(NEXT) | instid1(VALU_DEP_1)
	v_cndmask_b32_e64 v13, 0, v1, s1
	v_fma_f64 v[6:7], v[12:13], v[6:7], v[12:13]
	v_cmp_class_f64_e64 s1, v[12:13], 0x204
	v_cmp_neq_f64_e64 s0, v[10:11], v[14:15]
	s_delay_alu instid0(VALU_DEP_2) | instskip(SKIP_1) | instid1(VALU_DEP_2)
	v_dual_cndmask_b32 v7, v7, v13, s1 :: v_dual_cndmask_b32 v6, v6, v12, s1
	v_cmp_gt_f64_e64 s1, 0, v[4:5]
	v_cndmask_b32_e32 v5, 0, v6, vcc_lo
	s_and_b32 s0, vcc_lo, s0
	s_delay_alu instid0(SALU_CYCLE_1) | instskip(SKIP_1) | instid1(VALU_DEP_2)
	v_cndmask_b32_e64 v1, 0x3ff00000, v3, s0
	v_cndmask_b32_e64 v8, 0, v3, s0
	v_bfi_b32 v1, 0x7fffffff, v7, v1
	s_delay_alu instid0(VALU_DEP_1) | instskip(SKIP_2) | instid1(SALU_CYCLE_1)
	v_cndmask_b32_e32 v4, 0x7ff80000, v1, vcc_lo
	v_cmp_gt_f64_e32 vcc_lo, 0, v[2:3]
	s_xor_b32 s1, s1, s2
	v_cndmask_b32_e64 v7, 0x7ff00000, 0, s1
	s_delay_alu instid0(VALU_DEP_1)
	v_bfi_b32 v7, 0x7fffffff, v7, v8
	v_dual_cndmask_b32 v5, v6, v5, vcc_lo :: v_dual_cndmask_b32 v1, v1, v4, vcc_lo
	s_or_b32 vcc_lo, s2, s3
	s_delay_alu instid0(VALU_DEP_1) | instid1(SALU_CYCLE_1)
	v_cndmask_b32_e64 v5, v5, 0, vcc_lo
	s_delay_alu instid0(VALU_DEP_2) | instskip(SKIP_2) | instid1(VALU_DEP_4)
	v_cndmask_b32_e32 v4, v1, v7, vcc_lo
	v_cmp_o_f64_e32 vcc_lo, v[2:3], v[2:3]
	v_cvt_f64_i32_e32 v[0:1], v0
	v_cndmask_b32_e32 v2, 0, v5, vcc_lo
	s_delay_alu instid0(VALU_DEP_4) | instskip(SKIP_2) | instid1(VALU_DEP_2)
	v_cndmask_b32_e32 v3, 0x7ff80000, v4, vcc_lo
	v_cmp_eq_u32_e32 vcc_lo, s97, v45
	s_add_co_i32 s97, s97, 1
	v_mul_f64_e32 v[0:1], v[2:3], v[0:1]
	s_or_b32 s96, vcc_lo, s96
	s_delay_alu instid0(VALU_DEP_1)
	v_fmac_f64_e32 v[106:107], v[110:111], v[0:1]
	s_and_not1_b32 exec_lo, exec_lo, s96
	s_cbranch_execz .LBB0_272
.LBB0_268:                              ;   Parent Loop BB0_225 Depth=1
                                        ; =>  This Loop Header: Depth=2
                                        ;       Child Loop BB0_270 Depth 3
	v_mov_b64_e32 v[110:111], 0
	s_wait_xcnt 0x0
	s_and_saveexec_b32 s98, s87
	s_cbranch_execz .LBB0_267
; %bb.269:                              ;   in Loop: Header=BB0_268 Depth=2
	v_mov_b64_e32 v[110:111], 0
	s_wait_loadcnt 0x0
	v_dual_mov_b32 v109, v42 :: v_dual_mov_b32 v108, v44
	s_mov_b32 s100, 0
	s_mov_b32 s104, 0
.LBB0_270:                              ;   Parent Loop BB0_225 Depth=1
                                        ;     Parent Loop BB0_268 Depth=2
                                        ; =>    This Inner Loop Header: Depth=3
	v_dual_mov_b32 v31, v40 :: v_dual_mov_b32 v0, v42
	v_mov_b32_e32 v1, s104
	s_mov_b64 s[4:5], s[48:49]
	s_mov_b64 s[6:7], s[38:39]
	;; [unrolled: 1-line block ×4, first 2 shown]
	s_mov_b32 s12, s53
	s_mov_b32 s13, s52
	;; [unrolled: 1-line block ×4, first 2 shown]
	s_swap_pc_i64 s[30:31], s[68:69]
	v_cvt_f64_i32_e32 v[2:3], v109
	s_add_co_i32 s104, s104, 1
	v_add_nc_u32_e32 v109, -1, v109
	s_delay_alu instid0(VALU_DEP_2) | instskip(NEXT) | instid1(VALU_DEP_3)
	v_cndmask_b32_e64 v5, v3, 0x3ff00000, s80
	v_cndmask_b32_e64 v4, v2, 0, s80
	s_delay_alu instid0(VALU_DEP_1) | instskip(SKIP_2) | instid1(VALU_DEP_1)
	v_cmp_neq_f64_e32 vcc_lo, 0, v[4:5]
	v_cndmask_b32_e32 v3, 0x3ff00000, v93, vcc_lo
	v_cndmask_b32_e32 v2, 0, v92, vcc_lo
	v_frexp_mant_f64_e64 v[6:7], |v[2:3]|
	s_delay_alu instid0(VALU_DEP_1) | instskip(SKIP_1) | instid1(VALU_DEP_1)
	v_cmp_gt_f64_e32 vcc_lo, s[102:103], v[6:7]
	v_cndmask_b32_e64 v1, 0, 1, vcc_lo
	v_ldexp_f64 v[6:7], v[6:7], v1
	s_delay_alu instid0(VALU_DEP_1) | instskip(SKIP_2) | instid1(VALU_DEP_3)
	v_add_f64_e32 v[8:9], 1.0, v[6:7]
	v_add_f64_e32 v[14:15], -1.0, v[6:7]
	v_frexp_exp_i32_f64_e32 v1, v[2:3]
	v_rcp_f64_e32 v[10:11], v[8:9]
	v_add_f64_e32 v[16:17], -1.0, v[8:9]
	s_delay_alu instid0(VALU_DEP_2) | instskip(NEXT) | instid1(VALU_DEP_2)
	v_subrev_co_ci_u32_e64 v1, null, 0, v1, vcc_lo
	v_add_f64_e64 v[6:7], v[6:7], -v[16:17]
	s_delay_alu instid0(TRANS32_DEP_1) | instskip(NEXT) | instid1(VALU_DEP_1)
	v_fma_f64 v[12:13], -v[8:9], v[10:11], 1.0
	v_fmac_f64_e32 v[10:11], v[12:13], v[10:11]
	s_delay_alu instid0(VALU_DEP_1) | instskip(NEXT) | instid1(VALU_DEP_1)
	v_fma_f64 v[12:13], -v[8:9], v[10:11], 1.0
	v_fmac_f64_e32 v[10:11], v[12:13], v[10:11]
	s_delay_alu instid0(VALU_DEP_1) | instskip(NEXT) | instid1(VALU_DEP_1)
	v_mul_f64_e32 v[12:13], v[14:15], v[10:11]
	v_mul_f64_e32 v[18:19], v[8:9], v[12:13]
	s_delay_alu instid0(VALU_DEP_1) | instskip(NEXT) | instid1(VALU_DEP_1)
	v_fma_f64 v[8:9], v[12:13], v[8:9], -v[18:19]
	v_fmac_f64_e32 v[8:9], v[12:13], v[6:7]
	s_delay_alu instid0(VALU_DEP_1) | instskip(NEXT) | instid1(VALU_DEP_1)
	v_add_f64_e32 v[6:7], v[18:19], v[8:9]
	v_add_f64_e64 v[16:17], v[14:15], -v[6:7]
	v_add_f64_e64 v[18:19], v[6:7], -v[18:19]
	s_delay_alu instid0(VALU_DEP_2) | instskip(NEXT) | instid1(VALU_DEP_2)
	v_add_f64_e64 v[14:15], v[14:15], -v[16:17]
	v_add_f64_e64 v[8:9], v[18:19], -v[8:9]
	s_delay_alu instid0(VALU_DEP_2) | instskip(NEXT) | instid1(VALU_DEP_1)
	v_add_f64_e64 v[6:7], v[14:15], -v[6:7]
	v_add_f64_e32 v[6:7], v[8:9], v[6:7]
	s_delay_alu instid0(VALU_DEP_1) | instskip(NEXT) | instid1(VALU_DEP_1)
	v_add_f64_e32 v[6:7], v[16:17], v[6:7]
	v_mul_f64_e32 v[6:7], v[10:11], v[6:7]
	s_delay_alu instid0(VALU_DEP_1) | instskip(NEXT) | instid1(VALU_DEP_1)
	v_add_f64_e32 v[8:9], v[12:13], v[6:7]
	v_add_f64_e64 v[10:11], v[8:9], -v[12:13]
	v_mul_f64_e32 v[12:13], v[8:9], v[8:9]
	s_delay_alu instid0(VALU_DEP_2) | instskip(NEXT) | instid1(VALU_DEP_2)
	v_add_f64_e64 v[6:7], v[6:7], -v[10:11]
	v_fma_f64 v[10:11], v[8:9], v[8:9], -v[12:13]
	s_delay_alu instid0(VALU_DEP_2) | instskip(NEXT) | instid1(VALU_DEP_1)
	v_add_f64_e32 v[14:15], v[6:7], v[6:7]
	v_fmac_f64_e32 v[10:11], v[8:9], v[14:15]
	s_delay_alu instid0(VALU_DEP_1) | instskip(NEXT) | instid1(VALU_DEP_1)
	v_add_f64_e32 v[14:15], v[12:13], v[10:11]
	v_fmamk_f64 v[16:17], v[14:15], 0x3fbdee674222de17, v[90:91]
	v_add_f64_e64 v[12:13], v[14:15], -v[12:13]
	v_mul_f64_e32 v[20:21], v[8:9], v[14:15]
	s_delay_alu instid0(VALU_DEP_3) | instskip(NEXT) | instid1(VALU_DEP_1)
	v_fmaak_f64 v[16:17], v[14:15], v[16:17], 0x3fbe25e43abe935a
	v_fmaak_f64 v[16:17], v[14:15], v[16:17], 0x3fc110ef47e6c9c2
	s_delay_alu instid0(VALU_DEP_1) | instskip(NEXT) | instid1(VALU_DEP_1)
	v_fmaak_f64 v[16:17], v[14:15], v[16:17], 0x3fc3b13bcfa74449
	v_fmaak_f64 v[16:17], v[14:15], v[16:17], 0x3fc745d171bf3c30
	v_add_f64_e64 v[10:11], v[10:11], -v[12:13]
	v_fma_f64 v[24:25], v[14:15], v[8:9], -v[20:21]
	s_delay_alu instid0(VALU_DEP_3) | instskip(NEXT) | instid1(VALU_DEP_1)
	v_fmaak_f64 v[16:17], v[14:15], v[16:17], 0x3fcc71c71c7792ce
	v_fmaak_f64 v[16:17], v[14:15], v[16:17], 0x3fd24924924920da
	s_delay_alu instid0(VALU_DEP_1) | instskip(NEXT) | instid1(VALU_DEP_1)
	v_fmaak_f64 v[16:17], v[14:15], v[16:17], 0x3fd999999999999c
	v_mul_f64_e32 v[18:19], v[14:15], v[16:17]
	v_fmac_f64_e32 v[24:25], v[14:15], v[6:7]
	v_ldexp_f64 v[6:7], v[6:7], 1
	s_delay_alu instid0(VALU_DEP_3) | instskip(NEXT) | instid1(VALU_DEP_3)
	v_fma_f64 v[12:13], v[14:15], v[16:17], -v[18:19]
	v_fmac_f64_e32 v[24:25], v[10:11], v[8:9]
	v_ldexp_f64 v[8:9], v[8:9], 1
	s_delay_alu instid0(VALU_DEP_3) | instskip(NEXT) | instid1(VALU_DEP_1)
	v_fmac_f64_e32 v[12:13], v[10:11], v[16:17]
	v_add_f64_e32 v[16:17], v[18:19], v[12:13]
	s_delay_alu instid0(VALU_DEP_1) | instskip(SKIP_1) | instid1(VALU_DEP_2)
	v_add_f64_e32 v[22:23], 0x3fe5555555555555, v[16:17]
	v_add_f64_e64 v[18:19], v[16:17], -v[18:19]
	v_add_f64_e32 v[26:27], 0xbfe5555555555555, v[22:23]
	s_delay_alu instid0(VALU_DEP_2) | instskip(NEXT) | instid1(VALU_DEP_2)
	v_add_f64_e64 v[12:13], v[12:13], -v[18:19]
	v_add_f64_e64 v[14:15], v[16:17], -v[26:27]
	s_delay_alu instid0(VALU_DEP_2) | instskip(NEXT) | instid1(VALU_DEP_1)
	v_add_f64_e32 v[12:13], 0x3c8543b0d5df274d, v[12:13]
	v_add_f64_e32 v[10:11], v[12:13], v[14:15]
	;; [unrolled: 1-line block ×3, first 2 shown]
	s_delay_alu instid0(VALU_DEP_2) | instskip(NEXT) | instid1(VALU_DEP_2)
	v_add_f64_e32 v[14:15], v[22:23], v[10:11]
	v_add_f64_e64 v[20:21], v[12:13], -v[20:21]
	s_delay_alu instid0(VALU_DEP_2) | instskip(SKIP_1) | instid1(VALU_DEP_3)
	v_add_f64_e64 v[16:17], v[22:23], -v[14:15]
	v_mul_f64_e32 v[18:19], v[12:13], v[14:15]
	v_add_f64_e64 v[20:21], v[24:25], -v[20:21]
	s_delay_alu instid0(VALU_DEP_3) | instskip(NEXT) | instid1(VALU_DEP_3)
	v_add_f64_e32 v[10:11], v[10:11], v[16:17]
	v_fma_f64 v[16:17], v[12:13], v[14:15], -v[18:19]
	s_delay_alu instid0(VALU_DEP_1) | instskip(SKIP_1) | instid1(VALU_DEP_2)
	v_fmac_f64_e32 v[16:17], v[12:13], v[10:11]
	v_cvt_f64_i32_e32 v[12:13], v1
	v_fmac_f64_e32 v[16:17], v[20:21], v[14:15]
	s_delay_alu instid0(VALU_DEP_2) | instskip(NEXT) | instid1(VALU_DEP_2)
	v_mul_f64_e32 v[20:21], 0x3fe62e42fefa39ef, v[12:13]
	v_add_f64_e32 v[10:11], v[18:19], v[16:17]
	s_delay_alu instid0(VALU_DEP_1) | instskip(SKIP_1) | instid1(VALU_DEP_2)
	v_add_f64_e32 v[14:15], v[8:9], v[10:11]
	v_add_f64_e64 v[18:19], v[10:11], -v[18:19]
	v_add_f64_e64 v[8:9], v[14:15], -v[8:9]
	s_delay_alu instid0(VALU_DEP_2) | instskip(SKIP_1) | instid1(VALU_DEP_3)
	v_add_f64_e64 v[16:17], v[16:17], -v[18:19]
	v_fma_f64 v[18:19], v[12:13], s[64:65], -v[20:21]
	v_add_f64_e64 v[8:9], v[10:11], -v[8:9]
	s_delay_alu instid0(VALU_DEP_3) | instskip(NEXT) | instid1(VALU_DEP_3)
	v_add_f64_e32 v[6:7], v[6:7], v[16:17]
	v_fmac_f64_e32 v[18:19], 0x3c7abc9e3b39803f, v[12:13]
	s_delay_alu instid0(VALU_DEP_2) | instskip(NEXT) | instid1(VALU_DEP_2)
	v_add_f64_e32 v[6:7], v[6:7], v[8:9]
	v_add_f64_e32 v[8:9], v[20:21], v[18:19]
	s_delay_alu instid0(VALU_DEP_2) | instskip(NEXT) | instid1(VALU_DEP_2)
	v_add_f64_e32 v[10:11], v[14:15], v[6:7]
	v_add_f64_e64 v[20:21], v[8:9], -v[20:21]
	s_delay_alu instid0(VALU_DEP_2) | instskip(SKIP_1) | instid1(VALU_DEP_3)
	v_add_f64_e32 v[12:13], v[8:9], v[10:11]
	v_add_f64_e64 v[14:15], v[10:11], -v[14:15]
	v_add_f64_e64 v[18:19], v[18:19], -v[20:21]
	s_delay_alu instid0(VALU_DEP_3) | instskip(NEXT) | instid1(VALU_DEP_3)
	v_add_f64_e64 v[16:17], v[12:13], -v[8:9]
	v_add_f64_e64 v[6:7], v[6:7], -v[14:15]
	s_delay_alu instid0(VALU_DEP_2) | instskip(SKIP_1) | instid1(VALU_DEP_3)
	v_add_f64_e64 v[22:23], v[12:13], -v[16:17]
	v_add_f64_e64 v[10:11], v[10:11], -v[16:17]
	v_add_f64_e32 v[14:15], v[18:19], v[6:7]
	s_delay_alu instid0(VALU_DEP_3) | instskip(NEXT) | instid1(VALU_DEP_1)
	v_add_f64_e64 v[8:9], v[8:9], -v[22:23]
	v_add_f64_e32 v[8:9], v[10:11], v[8:9]
	s_delay_alu instid0(VALU_DEP_3) | instskip(NEXT) | instid1(VALU_DEP_2)
	v_add_f64_e64 v[10:11], v[14:15], -v[18:19]
	v_add_f64_e32 v[8:9], v[14:15], v[8:9]
	s_delay_alu instid0(VALU_DEP_2) | instskip(SKIP_1) | instid1(VALU_DEP_3)
	v_add_f64_e64 v[14:15], v[14:15], -v[10:11]
	v_add_f64_e64 v[6:7], v[6:7], -v[10:11]
	v_add_f64_e32 v[16:17], v[12:13], v[8:9]
	s_delay_alu instid0(VALU_DEP_3)
	v_add_f64_e64 v[10:11], v[18:19], -v[14:15]
	scratch_load_b64 v[18:19], v108, off
	s_wait_xcnt 0x0
	v_add_nc_u32_e32 v108, 56, v108
	v_add_f64_e64 v[12:13], v[16:17], -v[12:13]
	v_add_f64_e32 v[6:7], v[6:7], v[10:11]
	s_delay_alu instid0(VALU_DEP_2) | instskip(NEXT) | instid1(VALU_DEP_1)
	v_add_f64_e64 v[8:9], v[8:9], -v[12:13]
	v_add_f64_e32 v[6:7], v[6:7], v[8:9]
	s_delay_alu instid0(VALU_DEP_1) | instskip(NEXT) | instid1(VALU_DEP_1)
	v_add_f64_e32 v[8:9], v[16:17], v[6:7]
	v_add_f64_e64 v[10:11], v[8:9], -v[16:17]
	v_mul_f64_e32 v[12:13], v[4:5], v[8:9]
	s_delay_alu instid0(VALU_DEP_2) | instskip(NEXT) | instid1(VALU_DEP_2)
	v_add_f64_e64 v[6:7], v[6:7], -v[10:11]
	v_fma_f64 v[8:9], v[4:5], v[8:9], -v[12:13]
	v_cmp_class_f64_e64 vcc_lo, v[12:13], 0x204
	s_delay_alu instid0(VALU_DEP_2) | instskip(NEXT) | instid1(VALU_DEP_1)
	v_fmac_f64_e32 v[8:9], v[4:5], v[6:7]
	v_add_f64_e32 v[6:7], v[12:13], v[8:9]
	s_delay_alu instid0(VALU_DEP_1) | instskip(SKIP_1) | instid1(VALU_DEP_2)
	v_dual_cndmask_b32 v11, v7, v13 :: v_dual_cndmask_b32 v10, v6, v12
	v_add_f64_e64 v[6:7], v[6:7], -v[12:13]
	v_mul_f64_e32 v[14:15], 0x3ff71547652b82fe, v[10:11]
	v_cmp_nlt_f64_e64 s0, 0x40900000, v[10:11]
	v_cmp_neq_f64_e64 vcc_lo, 0x7ff00000, |v[10:11]|
	v_cmp_ngt_f64_e64 s1, 0xc090cc00, v[10:11]
	v_add_f64_e64 v[6:7], v[8:9], -v[6:7]
	v_rndne_f64_e32 v[14:15], v[14:15]
	s_delay_alu instid0(VALU_DEP_2) | instskip(SKIP_1) | instid1(VALU_DEP_2)
	v_dual_cndmask_b32 v7, 0, v7 :: v_dual_cndmask_b32 v6, 0, v6
	s_and_b32 vcc_lo, s1, s0
	v_fmamk_f64 v[16:17], v[14:15], 0xbfe62e42fefa39ef, v[10:11]
	v_cvt_i32_f64_e32 v1, v[14:15]
	s_delay_alu instid0(VALU_DEP_2) | instskip(NEXT) | instid1(VALU_DEP_1)
	v_fmac_f64_e32 v[16:17], 0xbc7abc9e3b39803f, v[14:15]
	v_fmamk_f64 v[20:21], v[16:17], 0x3e5ade156a5dcb37, v[104:105]
	s_delay_alu instid0(VALU_DEP_1) | instskip(NEXT) | instid1(VALU_DEP_1)
	v_fmaak_f64 v[20:21], v[16:17], v[20:21], 0x3ec71dee623fde64
	v_fmaak_f64 v[20:21], v[16:17], v[20:21], 0x3efa01997c89e6b0
	s_delay_alu instid0(VALU_DEP_1) | instskip(NEXT) | instid1(VALU_DEP_1)
	v_fmaak_f64 v[20:21], v[16:17], v[20:21], 0x3f2a01a014761f6e
	v_fmaak_f64 v[20:21], v[16:17], v[20:21], 0x3f56c16c1852b7b0
	;; [unrolled: 3-line block ×4, first 2 shown]
	s_delay_alu instid0(VALU_DEP_1) | instskip(NEXT) | instid1(VALU_DEP_1)
	v_fma_f64 v[20:21], v[16:17], v[20:21], 1.0
	v_fma_f64 v[14:15], v[16:17], v[20:21], 1.0
	v_trunc_f64_e32 v[16:17], v[4:5]
	s_delay_alu instid0(VALU_DEP_2) | instskip(SKIP_1) | instid1(VALU_DEP_3)
	v_ldexp_f64 v[12:13], v[14:15], v1
	v_mul_f64_e32 v[14:15], 0.5, v[4:5]
	v_cmp_eq_f64_e64 s2, v[16:17], v[4:5]
	s_delay_alu instid0(VALU_DEP_3) | instskip(NEXT) | instid1(VALU_DEP_3)
	v_cndmask_b32_e64 v1, 0x7ff00000, v13, s0
	v_trunc_f64_e32 v[8:9], v[14:15]
	v_cmp_gt_f64_e64 s0, 0, v[4:5]
	s_delay_alu instid0(VALU_DEP_2) | instskip(NEXT) | instid1(VALU_DEP_4)
	v_cmp_neq_f64_e64 s3, v[8:9], v[14:15]
	v_dual_cndmask_b32 v9, 0, v1, s1 :: v_dual_cndmask_b32 v8, 0, v12, vcc_lo
	v_cmp_eq_f64_e64 s1, 0, v[2:3]
	s_delay_alu instid0(VALU_DEP_2) | instskip(SKIP_2) | instid1(SALU_CYCLE_1)
	v_fma_f64 v[6:7], v[8:9], v[6:7], v[8:9]
	v_cmp_class_f64_e64 vcc_lo, v[8:9], 0x204
	s_and_b32 s3, s2, s3
	v_cndmask_b32_e64 v1, 0x3ff00000, v3, s3
	s_xor_b32 s0, s0, s1
	v_dual_cndmask_b32 v5, v7, v9 :: v_dual_cndmask_b32 v4, v6, v8
	v_cmp_gt_f64_e32 vcc_lo, 0, v[2:3]
	v_cndmask_b32_e64 v7, 0x7ff00000, 0, s0
	v_cndmask_b32_e64 v8, 0, v3, s3
	s_delay_alu instid0(VALU_DEP_4) | instskip(SKIP_1) | instid1(VALU_DEP_3)
	v_bfi_b32 v1, 0x7fffffff, v5, v1
	v_cndmask_b32_e64 v6, 0, v4, s2
	v_bfi_b32 v7, 0x7fffffff, v7, v8
	s_delay_alu instid0(VALU_DEP_3) | instskip(SKIP_1) | instid1(VALU_DEP_2)
	v_cndmask_b32_e64 v5, 0x7ff80000, v1, s2
	v_cmp_class_f64_e64 s2, v[2:3], 0x204
	v_dual_cndmask_b32 v4, v4, v6 :: v_dual_cndmask_b32 v1, v1, v5
	s_or_b32 vcc_lo, s1, s2
	s_delay_alu instid0(VALU_DEP_1) | instskip(NEXT) | instid1(VALU_DEP_2)
	v_cndmask_b32_e32 v5, v1, v7, vcc_lo
	v_cndmask_b32_e64 v4, v4, 0, vcc_lo
	v_cmp_o_f64_e32 vcc_lo, v[2:3], v[2:3]
	v_cvt_f64_i32_e32 v[0:1], v0
	s_delay_alu instid0(VALU_DEP_3) | instskip(SKIP_2) | instid1(VALU_DEP_2)
	v_cndmask_b32_e32 v2, 0, v4, vcc_lo
	v_cndmask_b32_e32 v3, 0x7ff80000, v5, vcc_lo
	v_cmp_eq_u32_e32 vcc_lo, -1, v109
	v_mul_f64_e32 v[0:1], v[2:3], v[0:1]
	s_or_b32 s100, vcc_lo, s100
	s_wait_loadcnt 0x0
	s_delay_alu instid0(VALU_DEP_1)
	v_fmac_f64_e32 v[110:111], v[18:19], v[0:1]
	s_and_not1_b32 exec_lo, exec_lo, s100
	s_cbranch_execnz .LBB0_270
; %bb.271:                              ;   in Loop: Header=BB0_268 Depth=2
	s_or_b32 exec_lo, exec_lo, s100
	s_branch .LBB0_267
.LBB0_272:                              ;   in Loop: Header=BB0_225 Depth=1
	s_or_b32 exec_lo, exec_lo, s96
	scratch_load_b32 v111, off, s33 offset:876 ; 4-byte Folded Reload
.LBB0_273:                              ;   in Loop: Header=BB0_225 Depth=1
	s_wait_xcnt 0x0
	s_or_b32 exec_lo, exec_lo, s84
	scratch_load_b64 v[0:1], off, s33 offset:836 ; 8-byte Folded Reload
	s_wait_loadcnt 0x0
	v_mul_f64_e32 v[0:1], v[0:1], v[62:63]
	s_delay_alu instid0(VALU_DEP_1)
	v_add_f64_e32 v[2:3], v[0:1], v[0:1]
	scratch_load_b64 v[0:1], off, s33 offset:796 ; 8-byte Folded Reload
	s_wait_loadcnt 0x0
	v_fmac_f64_e32 v[2:3], v[0:1], v[88:89]
	scratch_load_b64 v[0:1], off, s33 offset:728 ; 8-byte Folded Reload
	s_wait_loadcnt 0x0
	scratch_store_b64 off, v[0:1], s33 offset:320
	s_wait_xcnt 0x0
	s_mov_b32 s0, exec_lo
	v_readlane_b32 s1, v125, 13
	s_and_b32 s1, s0, s1
	s_delay_alu instid0(SALU_CYCLE_1)
	s_mov_b32 exec_lo, s1
	s_cbranch_execz .LBB0_275
; %bb.274:                              ;   in Loop: Header=BB0_225 Depth=1
	scratch_load_b64 v[0:1], off, s33 offset:728 ; 8-byte Folded Reload
	s_wait_loadcnt 0x0
	v_mul_f64_e32 v[0:1], v[0:1], v[2:3]
	scratch_store_b64 off, v[0:1], s33 offset:376
.LBB0_275:                              ;   in Loop: Header=BB0_225 Depth=1
	s_wait_xcnt 0x0
	s_or_b32 exec_lo, exec_lo, s0
	s_clause 0x1
	scratch_load_b64 v[0:1], off, s33 offset:844
	scratch_load_b64 v[4:5], off, s33 offset:772
	s_wait_loadcnt 0x1
	v_mul_f64_e32 v[0:1], v[0:1], v[62:63]
	s_delay_alu instid0(VALU_DEP_1) | instskip(SKIP_1) | instid1(VALU_DEP_1)
	v_add_f64_e32 v[0:1], v[0:1], v[0:1]
	s_wait_loadcnt 0x0
	v_fmac_f64_e32 v[0:1], v[4:5], v[88:89]
	s_wait_xcnt 0x0
	s_mov_b32 s0, exec_lo
	v_readlane_b32 s1, v125, 14
	s_and_b32 s1, s0, s1
	s_delay_alu instid0(SALU_CYCLE_1)
	s_mov_b32 exec_lo, s1
	s_cbranch_execz .LBB0_277
; %bb.276:                              ;   in Loop: Header=BB0_225 Depth=1
	scratch_load_b64 v[4:5], off, s33 offset:728 ; 8-byte Folded Reload
	s_wait_loadcnt 0x0
	v_mul_f64_e32 v[4:5], v[4:5], v[0:1]
	scratch_store_b64 off, v[4:5], s33 offset:328
.LBB0_277:                              ;   in Loop: Header=BB0_225 Depth=1
	s_wait_xcnt 0x0
	s_or_b32 exec_lo, exec_lo, s0
	s_delay_alu instid0(SALU_CYCLE_1) | instskip(SKIP_2) | instid1(SALU_CYCLE_1)
	s_mov_b32 s0, exec_lo
	v_readlane_b32 s1, v125, 12
	s_and_b32 s1, s0, s1
	s_mov_b32 exec_lo, s1
	s_cbranch_execz .LBB0_280
; %bb.278:                              ;   in Loop: Header=BB0_225 Depth=1
	scratch_load_b64 v[4:5], off, s33 offset:376
	v_readlane_b32 s3, v125, 17
	s_mov_b32 s1, 1
	s_mov_b32 s2, 0
.LBB0_279:                              ;   Parent Loop BB0_225 Depth=1
                                        ; =>  This Inner Loop Header: Depth=2
	scratch_load_b64 v[6:7], off, s3 offset:-112
	v_cvt_f64_i32_e32 v[8:9], s1
	s_add_co_i32 s1, s1, 1
	s_delay_alu instid0(SALU_CYCLE_1) | instskip(NEXT) | instid1(VALU_DEP_2)
	v_cmp_eq_u32_e32 vcc_lo, s1, v122
	v_mul_f64_e32 v[8:9], v[78:79], v[8:9]
	s_wait_loadcnt 0x0
	s_delay_alu instid0(VALU_DEP_1) | instskip(NEXT) | instid1(VALU_DEP_1)
	v_mul_f64_e32 v[6:7], v[6:7], v[8:9]
	v_fmac_f64_e32 v[6:7], v[2:3], v[4:5]
	s_delay_alu instid0(VALU_DEP_1) | instskip(SKIP_4) | instid1(SALU_CYCLE_1)
	v_mov_b64_e32 v[4:5], v[6:7]
	scratch_store_b64 off, v[6:7], s3
	s_wait_xcnt 0x0
	s_add_co_i32 s3, s3, 56
	s_or_b32 s2, vcc_lo, s2
	s_and_not1_b32 exec_lo, exec_lo, s2
	s_cbranch_execnz .LBB0_279
.LBB0_280:                              ;   in Loop: Header=BB0_225 Depth=1
	s_or_b32 exec_lo, exec_lo, s0
	s_and_saveexec_b32 s0, s99
	s_cbranch_execz .LBB0_283
; %bb.281:                              ;   in Loop: Header=BB0_225 Depth=1
	scratch_load_b64 v[2:3], off, s33 offset:328
	v_readlane_b32 s3, v125, 18
	s_mov_b32 s1, 1
	s_mov_b32 s2, 0
.LBB0_282:                              ;   Parent Loop BB0_225 Depth=1
                                        ; =>  This Inner Loop Header: Depth=2
	scratch_load_b64 v[4:5], off, s3 offset:-16
	v_cvt_f64_i32_e32 v[6:7], s1
	s_add_co_i32 s1, s1, 1
	s_delay_alu instid0(SALU_CYCLE_1) | instskip(NEXT) | instid1(VALU_DEP_2)
	v_cmp_eq_u32_e32 vcc_lo, s1, v123
	v_mul_f64_e32 v[6:7], v[74:75], v[6:7]
	s_wait_loadcnt 0x0
	s_delay_alu instid0(VALU_DEP_1) | instskip(NEXT) | instid1(VALU_DEP_1)
	v_mul_f64_e32 v[4:5], v[4:5], v[6:7]
	v_fmac_f64_e32 v[4:5], v[0:1], v[2:3]
	s_delay_alu instid0(VALU_DEP_1) | instskip(SKIP_4) | instid1(SALU_CYCLE_1)
	v_mov_b64_e32 v[2:3], v[4:5]
	scratch_store_b64 off, v[4:5], s3
	s_wait_xcnt 0x0
	s_add_co_i32 s3, s3, 8
	s_or_b32 s2, vcc_lo, s2
	s_and_not1_b32 exec_lo, exec_lo, s2
	s_cbranch_execnz .LBB0_282
.LBB0_283:                              ;   in Loop: Header=BB0_225 Depth=1
	s_or_b32 exec_lo, exec_lo, s0
	s_delay_alu instid0(SALU_CYCLE_1) | instskip(SKIP_2) | instid1(SALU_CYCLE_1)
	s_mov_b32 s0, exec_lo
	v_readlane_b32 s1, v125, 15
	s_and_b32 s1, s0, s1
	s_mov_b32 exec_lo, s1
	s_cbranch_execz .LBB0_289
; %bb.284:                              ;   in Loop: Header=BB0_225 Depth=1
	v_mov_b64_e32 v[2:3], 1.0
	v_readlane_b32 s2, v125, 1
	s_mov_b32 s3, 1
	s_mov_b32 s1, 0
	s_branch .LBB0_286
.LBB0_285:                              ;   in Loop: Header=BB0_286 Depth=2
	s_or_b32 exec_lo, exec_lo, s4
	v_add_f64_e32 v[2:3], 1.0, v[2:3]
	v_cmp_eq_u32_e32 vcc_lo, s3, v122
	s_add_co_i32 s3, s3, 1
	s_add_co_i32 s2, s2, 56
	s_or_b32 s1, vcc_lo, s1
	s_delay_alu instid0(SALU_CYCLE_1)
	s_and_not1_b32 exec_lo, exec_lo, s1
	s_cbranch_execz .LBB0_289
.LBB0_286:                              ;   Parent Loop BB0_225 Depth=1
                                        ; =>  This Loop Header: Depth=2
                                        ;       Child Loop BB0_288 Depth 3
	s_mul_i32 s4, s3, 56
	s_delay_alu instid0(VALU_DEP_2) | instskip(SKIP_1) | instid1(SALU_CYCLE_1)
	v_mul_f64_e32 v[4:5], v[62:63], v[2:3]
	s_add_co_i32 s5, s33, s4
	s_add_co_i32 s4, s5, 0x140
	s_clause 0x1
	scratch_load_b64 v[6:7], off, s4
	scratch_load_b64 v[8:9], off, s4 offset:-56
	s_wait_loadcnt 0x1
	v_mul_f64_e32 v[6:7], v[0:1], v[6:7]
	s_wait_loadcnt 0x0
	s_delay_alu instid0(VALU_DEP_1)
	v_fmac_f64_e32 v[6:7], v[8:9], v[4:5]
	scratch_store_b64 off, v[6:7], s4 offset:8
	s_wait_xcnt 0x0
	s_and_saveexec_b32 s4, s99
	s_cbranch_execz .LBB0_285
; %bb.287:                              ;   in Loop: Header=BB0_286 Depth=2
	s_mov_b32 s5, 1
	s_mov_b32 s6, 0
	;; [unrolled: 1-line block ×3, first 2 shown]
.LBB0_288:                              ;   Parent Loop BB0_225 Depth=1
                                        ;     Parent Loop BB0_286 Depth=2
                                        ; =>    This Inner Loop Header: Depth=3
	s_clause 0x1
	scratch_load_b64 v[8:9], off, s7
	scratch_load_b64 v[10:11], off, s7 offset:-48
	v_cvt_f64_i32_e32 v[12:13], s5
	s_add_co_i32 s5, s5, 1
	s_delay_alu instid0(SALU_CYCLE_1) | instskip(NEXT) | instid1(VALU_DEP_2)
	v_cmp_eq_u32_e32 vcc_lo, s5, v123
	v_mul_f64_e32 v[12:13], v[74:75], v[12:13]
	s_wait_loadcnt 0x1
	s_delay_alu instid0(VALU_DEP_1) | instskip(SKIP_1) | instid1(VALU_DEP_1)
	v_mul_f64_e32 v[8:9], v[8:9], v[12:13]
	s_wait_loadcnt 0x0
	v_fmac_f64_e32 v[8:9], v[4:5], v[10:11]
	s_delay_alu instid0(VALU_DEP_1) | instskip(NEXT) | instid1(VALU_DEP_1)
	v_fmac_f64_e32 v[8:9], v[0:1], v[6:7]
	v_mov_b64_e32 v[6:7], v[8:9]
	scratch_store_b64 off, v[8:9], s7 offset:16
	s_wait_xcnt 0x0
	s_add_co_i32 s7, s7, 8
	s_or_b32 s6, vcc_lo, s6
	s_delay_alu instid0(SALU_CYCLE_1)
	s_and_not1_b32 exec_lo, exec_lo, s6
	s_cbranch_execnz .LBB0_288
	s_branch .LBB0_285
.LBB0_289:                              ;   in Loop: Header=BB0_225 Depth=1
	s_or_b32 exec_lo, exec_lo, s0
	v_mov_b64_e32 v[62:63], 0
	s_mov_b32 s84, exec_lo
	v_readlane_b32 s0, v125, 16
	s_and_b32 s0, s84, s0
	s_delay_alu instid0(SALU_CYCLE_1)
	s_mov_b32 exec_lo, s0
	s_cbranch_execz .LBB0_224
; %bb.290:                              ;   in Loop: Header=BB0_225 Depth=1
	scratch_load_b32 v78, off, s33 offset:888 ; 4-byte Folded Reload
	v_mov_b64_e32 v[62:63], 0
	s_mov_b32 s96, 0
	s_mov_b32 s97, 0
	s_branch .LBB0_292
.LBB0_291:                              ;   in Loop: Header=BB0_292 Depth=2
	s_or_b32 exec_lo, exec_lo, s98
	v_dual_mov_b32 v31, v40 :: v_dual_mov_b32 v0, v46
	v_mov_b32_e32 v1, s97
	s_mov_b64 s[4:5], s[48:49]
	s_mov_b64 s[6:7], s[38:39]
	;; [unrolled: 1-line block ×4, first 2 shown]
	s_mov_b32 s12, s53
	s_mov_b32 s13, s52
	;; [unrolled: 1-line block ×4, first 2 shown]
	s_swap_pc_i64 s[30:31], s[68:69]
	v_subrev_nc_u32_e32 v1, s97, v46
	v_add_nc_u32_e32 v78, 8, v78
	s_delay_alu instid0(VALU_DEP_2) | instskip(NEXT) | instid1(VALU_DEP_1)
	v_cvt_f64_i32_e32 v[2:3], v1
	v_cndmask_b32_e64 v5, v3, 0x3ff00000, s83
	s_delay_alu instid0(VALU_DEP_2) | instskip(NEXT) | instid1(VALU_DEP_1)
	v_cndmask_b32_e64 v4, v2, 0, s83
	v_cmp_neq_f64_e32 vcc_lo, 0, v[4:5]
	v_cndmask_b32_e32 v3, 0x3ff00000, v73, vcc_lo
	v_cndmask_b32_e32 v2, 0, v72, vcc_lo
	s_delay_alu instid0(VALU_DEP_1) | instskip(NEXT) | instid1(VALU_DEP_1)
	v_frexp_mant_f64_e64 v[6:7], |v[2:3]|
	v_cmp_gt_f64_e32 vcc_lo, s[102:103], v[6:7]
	v_cndmask_b32_e64 v1, 0, 1, vcc_lo
	s_delay_alu instid0(VALU_DEP_1) | instskip(NEXT) | instid1(VALU_DEP_1)
	v_ldexp_f64 v[6:7], v[6:7], v1
	v_add_f64_e32 v[8:9], 1.0, v[6:7]
	v_add_f64_e32 v[14:15], -1.0, v[6:7]
	v_frexp_exp_i32_f64_e32 v1, v[2:3]
	v_cmp_eq_f64_e64 s2, 0, v[2:3]
	v_cmp_class_f64_e64 s3, v[2:3], 0x204
	v_rcp_f64_e32 v[10:11], v[8:9]
	v_add_f64_e32 v[16:17], -1.0, v[8:9]
	s_delay_alu instid0(VALU_DEP_4) | instskip(NEXT) | instid1(VALU_DEP_2)
	v_subrev_co_ci_u32_e64 v1, null, 0, v1, vcc_lo
	v_add_f64_e64 v[6:7], v[6:7], -v[16:17]
	s_delay_alu instid0(TRANS32_DEP_1) | instskip(NEXT) | instid1(VALU_DEP_1)
	v_fma_f64 v[12:13], -v[8:9], v[10:11], 1.0
	v_fmac_f64_e32 v[10:11], v[12:13], v[10:11]
	s_delay_alu instid0(VALU_DEP_1) | instskip(NEXT) | instid1(VALU_DEP_1)
	v_fma_f64 v[12:13], -v[8:9], v[10:11], 1.0
	v_fmac_f64_e32 v[10:11], v[12:13], v[10:11]
	s_delay_alu instid0(VALU_DEP_1) | instskip(NEXT) | instid1(VALU_DEP_1)
	v_mul_f64_e32 v[12:13], v[14:15], v[10:11]
	v_mul_f64_e32 v[18:19], v[8:9], v[12:13]
	s_delay_alu instid0(VALU_DEP_1) | instskip(NEXT) | instid1(VALU_DEP_1)
	v_fma_f64 v[8:9], v[12:13], v[8:9], -v[18:19]
	v_fmac_f64_e32 v[8:9], v[12:13], v[6:7]
	s_delay_alu instid0(VALU_DEP_1) | instskip(NEXT) | instid1(VALU_DEP_1)
	v_add_f64_e32 v[6:7], v[18:19], v[8:9]
	v_add_f64_e64 v[16:17], v[14:15], -v[6:7]
	v_add_f64_e64 v[18:19], v[6:7], -v[18:19]
	s_delay_alu instid0(VALU_DEP_2) | instskip(NEXT) | instid1(VALU_DEP_2)
	v_add_f64_e64 v[14:15], v[14:15], -v[16:17]
	v_add_f64_e64 v[8:9], v[18:19], -v[8:9]
	s_delay_alu instid0(VALU_DEP_2) | instskip(NEXT) | instid1(VALU_DEP_1)
	v_add_f64_e64 v[6:7], v[14:15], -v[6:7]
	v_add_f64_e32 v[6:7], v[8:9], v[6:7]
	s_delay_alu instid0(VALU_DEP_1) | instskip(NEXT) | instid1(VALU_DEP_1)
	v_add_f64_e32 v[6:7], v[16:17], v[6:7]
	v_mul_f64_e32 v[6:7], v[10:11], v[6:7]
	s_delay_alu instid0(VALU_DEP_1) | instskip(NEXT) | instid1(VALU_DEP_1)
	v_add_f64_e32 v[8:9], v[12:13], v[6:7]
	v_add_f64_e64 v[10:11], v[8:9], -v[12:13]
	v_mul_f64_e32 v[12:13], v[8:9], v[8:9]
	s_delay_alu instid0(VALU_DEP_2) | instskip(NEXT) | instid1(VALU_DEP_2)
	v_add_f64_e64 v[6:7], v[6:7], -v[10:11]
	v_fma_f64 v[10:11], v[8:9], v[8:9], -v[12:13]
	s_delay_alu instid0(VALU_DEP_2) | instskip(NEXT) | instid1(VALU_DEP_1)
	v_add_f64_e32 v[14:15], v[6:7], v[6:7]
	v_fmac_f64_e32 v[10:11], v[8:9], v[14:15]
	s_delay_alu instid0(VALU_DEP_1) | instskip(NEXT) | instid1(VALU_DEP_1)
	v_add_f64_e32 v[14:15], v[12:13], v[10:11]
	v_fmamk_f64 v[16:17], v[14:15], 0x3fbdee674222de17, v[90:91]
	v_add_f64_e64 v[12:13], v[14:15], -v[12:13]
	v_mul_f64_e32 v[22:23], v[8:9], v[14:15]
	s_delay_alu instid0(VALU_DEP_3) | instskip(NEXT) | instid1(VALU_DEP_1)
	v_fmaak_f64 v[16:17], v[14:15], v[16:17], 0x3fbe25e43abe935a
	v_fmaak_f64 v[16:17], v[14:15], v[16:17], 0x3fc110ef47e6c9c2
	s_delay_alu instid0(VALU_DEP_1) | instskip(NEXT) | instid1(VALU_DEP_1)
	v_fmaak_f64 v[16:17], v[14:15], v[16:17], 0x3fc3b13bcfa74449
	v_fmaak_f64 v[16:17], v[14:15], v[16:17], 0x3fc745d171bf3c30
	v_add_f64_e64 v[10:11], v[10:11], -v[12:13]
	s_delay_alu instid0(VALU_DEP_2) | instskip(NEXT) | instid1(VALU_DEP_1)
	v_fmaak_f64 v[16:17], v[14:15], v[16:17], 0x3fcc71c71c7792ce
	v_fmaak_f64 v[16:17], v[14:15], v[16:17], 0x3fd24924924920da
	s_delay_alu instid0(VALU_DEP_1) | instskip(NEXT) | instid1(VALU_DEP_1)
	v_fmaak_f64 v[16:17], v[14:15], v[16:17], 0x3fd999999999999c
	v_mul_f64_e32 v[18:19], v[14:15], v[16:17]
	s_delay_alu instid0(VALU_DEP_1) | instskip(NEXT) | instid1(VALU_DEP_1)
	v_fma_f64 v[12:13], v[14:15], v[16:17], -v[18:19]
	v_fmac_f64_e32 v[12:13], v[10:11], v[16:17]
	s_delay_alu instid0(VALU_DEP_1) | instskip(NEXT) | instid1(VALU_DEP_1)
	v_add_f64_e32 v[16:17], v[18:19], v[12:13]
	v_add_f64_e32 v[20:21], 0x3fe5555555555555, v[16:17]
	v_add_f64_e64 v[18:19], v[16:17], -v[18:19]
	s_delay_alu instid0(VALU_DEP_2) | instskip(NEXT) | instid1(VALU_DEP_2)
	v_add_f64_e32 v[24:25], 0xbfe5555555555555, v[20:21]
	v_add_f64_e64 v[12:13], v[12:13], -v[18:19]
	v_fma_f64 v[18:19], v[14:15], v[8:9], -v[22:23]
	s_delay_alu instid0(VALU_DEP_3) | instskip(NEXT) | instid1(VALU_DEP_3)
	v_add_f64_e64 v[16:17], v[16:17], -v[24:25]
	v_add_f64_e32 v[12:13], 0x3c8543b0d5df274d, v[12:13]
	s_delay_alu instid0(VALU_DEP_3) | instskip(SKIP_1) | instid1(VALU_DEP_3)
	v_fmac_f64_e32 v[18:19], v[14:15], v[6:7]
	v_ldexp_f64 v[6:7], v[6:7], 1
	v_add_f64_e32 v[12:13], v[12:13], v[16:17]
	s_delay_alu instid0(VALU_DEP_3) | instskip(SKIP_1) | instid1(VALU_DEP_3)
	v_fmac_f64_e32 v[18:19], v[10:11], v[8:9]
	v_ldexp_f64 v[8:9], v[8:9], 1
	v_add_f64_e32 v[10:11], v[20:21], v[12:13]
	s_delay_alu instid0(VALU_DEP_3) | instskip(NEXT) | instid1(VALU_DEP_2)
	v_add_f64_e32 v[14:15], v[22:23], v[18:19]
	v_add_f64_e64 v[16:17], v[20:21], -v[10:11]
	s_delay_alu instid0(VALU_DEP_2) | instskip(SKIP_1) | instid1(VALU_DEP_3)
	v_mul_f64_e32 v[20:21], v[14:15], v[10:11]
	v_add_f64_e64 v[22:23], v[14:15], -v[22:23]
	v_add_f64_e32 v[12:13], v[12:13], v[16:17]
	s_delay_alu instid0(VALU_DEP_3) | instskip(NEXT) | instid1(VALU_DEP_3)
	v_fma_f64 v[16:17], v[14:15], v[10:11], -v[20:21]
	v_add_f64_e64 v[18:19], v[18:19], -v[22:23]
	s_delay_alu instid0(VALU_DEP_2) | instskip(SKIP_1) | instid1(VALU_DEP_2)
	v_fmac_f64_e32 v[16:17], v[14:15], v[12:13]
	v_cvt_f64_i32_e32 v[12:13], v1
	v_fmac_f64_e32 v[16:17], v[18:19], v[10:11]
	s_delay_alu instid0(VALU_DEP_1) | instskip(NEXT) | instid1(VALU_DEP_1)
	v_add_f64_e32 v[10:11], v[20:21], v[16:17]
	v_add_f64_e32 v[14:15], v[8:9], v[10:11]
	v_add_f64_e64 v[18:19], v[10:11], -v[20:21]
	v_mul_f64_e32 v[20:21], 0x3fe62e42fefa39ef, v[12:13]
	s_delay_alu instid0(VALU_DEP_3) | instskip(NEXT) | instid1(VALU_DEP_3)
	v_add_f64_e64 v[8:9], v[14:15], -v[8:9]
	v_add_f64_e64 v[16:17], v[16:17], -v[18:19]
	s_delay_alu instid0(VALU_DEP_3) | instskip(NEXT) | instid1(VALU_DEP_3)
	v_fma_f64 v[18:19], v[12:13], s[64:65], -v[20:21]
	v_add_f64_e64 v[8:9], v[10:11], -v[8:9]
	s_delay_alu instid0(VALU_DEP_3) | instskip(NEXT) | instid1(VALU_DEP_3)
	v_add_f64_e32 v[6:7], v[6:7], v[16:17]
	v_fmac_f64_e32 v[18:19], 0x3c7abc9e3b39803f, v[12:13]
	s_delay_alu instid0(VALU_DEP_2) | instskip(NEXT) | instid1(VALU_DEP_2)
	v_add_f64_e32 v[6:7], v[6:7], v[8:9]
	v_add_f64_e32 v[8:9], v[20:21], v[18:19]
	s_delay_alu instid0(VALU_DEP_2) | instskip(NEXT) | instid1(VALU_DEP_2)
	v_add_f64_e32 v[10:11], v[14:15], v[6:7]
	v_add_f64_e64 v[20:21], v[8:9], -v[20:21]
	s_delay_alu instid0(VALU_DEP_2) | instskip(SKIP_1) | instid1(VALU_DEP_3)
	v_add_f64_e32 v[12:13], v[8:9], v[10:11]
	v_add_f64_e64 v[14:15], v[10:11], -v[14:15]
	v_add_f64_e64 v[18:19], v[18:19], -v[20:21]
	s_delay_alu instid0(VALU_DEP_3) | instskip(NEXT) | instid1(VALU_DEP_3)
	v_add_f64_e64 v[16:17], v[12:13], -v[8:9]
	v_add_f64_e64 v[6:7], v[6:7], -v[14:15]
	s_delay_alu instid0(VALU_DEP_2) | instskip(SKIP_1) | instid1(VALU_DEP_3)
	v_add_f64_e64 v[22:23], v[12:13], -v[16:17]
	v_add_f64_e64 v[10:11], v[10:11], -v[16:17]
	v_add_f64_e32 v[14:15], v[18:19], v[6:7]
	s_delay_alu instid0(VALU_DEP_3) | instskip(NEXT) | instid1(VALU_DEP_1)
	v_add_f64_e64 v[8:9], v[8:9], -v[22:23]
	v_add_f64_e32 v[8:9], v[10:11], v[8:9]
	s_delay_alu instid0(VALU_DEP_3) | instskip(NEXT) | instid1(VALU_DEP_2)
	v_add_f64_e64 v[10:11], v[14:15], -v[18:19]
	v_add_f64_e32 v[8:9], v[14:15], v[8:9]
	s_delay_alu instid0(VALU_DEP_2) | instskip(SKIP_1) | instid1(VALU_DEP_3)
	v_add_f64_e64 v[14:15], v[14:15], -v[10:11]
	v_add_f64_e64 v[6:7], v[6:7], -v[10:11]
	v_add_f64_e32 v[16:17], v[12:13], v[8:9]
	s_delay_alu instid0(VALU_DEP_3) | instskip(NEXT) | instid1(VALU_DEP_2)
	v_add_f64_e64 v[10:11], v[18:19], -v[14:15]
	v_add_f64_e64 v[12:13], v[16:17], -v[12:13]
	s_delay_alu instid0(VALU_DEP_2) | instskip(NEXT) | instid1(VALU_DEP_2)
	v_add_f64_e32 v[6:7], v[6:7], v[10:11]
	v_add_f64_e64 v[8:9], v[8:9], -v[12:13]
	s_delay_alu instid0(VALU_DEP_1) | instskip(NEXT) | instid1(VALU_DEP_1)
	v_add_f64_e32 v[6:7], v[6:7], v[8:9]
	v_add_f64_e32 v[8:9], v[16:17], v[6:7]
	s_delay_alu instid0(VALU_DEP_1) | instskip(SKIP_1) | instid1(VALU_DEP_2)
	v_add_f64_e64 v[10:11], v[8:9], -v[16:17]
	v_mul_f64_e32 v[12:13], v[4:5], v[8:9]
	v_add_f64_e64 v[6:7], v[6:7], -v[10:11]
	s_delay_alu instid0(VALU_DEP_2) | instskip(SKIP_1) | instid1(VALU_DEP_2)
	v_fma_f64 v[8:9], v[4:5], v[8:9], -v[12:13]
	v_cmp_class_f64_e64 vcc_lo, v[12:13], 0x204
	v_fmac_f64_e32 v[8:9], v[4:5], v[6:7]
	s_delay_alu instid0(VALU_DEP_1) | instskip(NEXT) | instid1(VALU_DEP_1)
	v_add_f64_e32 v[6:7], v[12:13], v[8:9]
	v_dual_cndmask_b32 v11, v7, v13 :: v_dual_cndmask_b32 v10, v6, v12
	v_add_f64_e64 v[6:7], v[6:7], -v[12:13]
	s_delay_alu instid0(VALU_DEP_2)
	v_mul_f64_e32 v[14:15], 0x3ff71547652b82fe, v[10:11]
	v_cmp_nlt_f64_e64 s0, 0x40900000, v[10:11]
	v_cmp_neq_f64_e64 vcc_lo, 0x7ff00000, |v[10:11]|
	v_cmp_ngt_f64_e64 s1, 0xc090cc00, v[10:11]
	v_add_f64_e64 v[6:7], v[8:9], -v[6:7]
	v_trunc_f64_e32 v[8:9], v[4:5]
	v_rndne_f64_e32 v[14:15], v[14:15]
	s_delay_alu instid0(VALU_DEP_3) | instskip(SKIP_1) | instid1(VALU_DEP_2)
	v_dual_cndmask_b32 v7, 0, v7 :: v_dual_cndmask_b32 v6, 0, v6
	s_and_b32 vcc_lo, s1, s0
	v_fmamk_f64 v[16:17], v[14:15], 0xbfe62e42fefa39ef, v[10:11]
	v_cvt_i32_f64_e32 v1, v[14:15]
	s_delay_alu instid0(VALU_DEP_2) | instskip(NEXT) | instid1(VALU_DEP_1)
	v_fmac_f64_e32 v[16:17], 0xbc7abc9e3b39803f, v[14:15]
	v_fmamk_f64 v[18:19], v[16:17], 0x3e5ade156a5dcb37, v[104:105]
	s_delay_alu instid0(VALU_DEP_1) | instskip(NEXT) | instid1(VALU_DEP_1)
	v_fmaak_f64 v[18:19], v[16:17], v[18:19], 0x3ec71dee623fde64
	v_fmaak_f64 v[18:19], v[16:17], v[18:19], 0x3efa01997c89e6b0
	s_delay_alu instid0(VALU_DEP_1) | instskip(NEXT) | instid1(VALU_DEP_1)
	v_fmaak_f64 v[18:19], v[16:17], v[18:19], 0x3f2a01a014761f6e
	v_fmaak_f64 v[18:19], v[16:17], v[18:19], 0x3f56c16c1852b7b0
	;; [unrolled: 3-line block ×4, first 2 shown]
	s_delay_alu instid0(VALU_DEP_1) | instskip(NEXT) | instid1(VALU_DEP_1)
	v_fma_f64 v[18:19], v[16:17], v[18:19], 1.0
	v_fma_f64 v[14:15], v[16:17], v[18:19], 1.0
	s_delay_alu instid0(VALU_DEP_1) | instskip(SKIP_1) | instid1(VALU_DEP_2)
	v_ldexp_f64 v[12:13], v[14:15], v1
	v_mul_f64_e32 v[14:15], 0.5, v[4:5]
	v_cndmask_b32_e64 v1, 0x7ff00000, v13, s0
	s_delay_alu instid0(VALU_DEP_2) | instskip(NEXT) | instid1(VALU_DEP_4)
	v_trunc_f64_e32 v[10:11], v[14:15]
	v_cndmask_b32_e32 v12, 0, v12, vcc_lo
	v_cmp_eq_f64_e32 vcc_lo, v[8:9], v[4:5]
	s_delay_alu instid0(VALU_DEP_4) | instskip(NEXT) | instid1(VALU_DEP_1)
	v_cndmask_b32_e64 v13, 0, v1, s1
	v_fma_f64 v[6:7], v[12:13], v[6:7], v[12:13]
	v_cmp_class_f64_e64 s1, v[12:13], 0x204
	v_cmp_neq_f64_e64 s0, v[10:11], v[14:15]
	s_delay_alu instid0(VALU_DEP_2) | instskip(SKIP_1) | instid1(VALU_DEP_2)
	v_dual_cndmask_b32 v7, v7, v13, s1 :: v_dual_cndmask_b32 v6, v6, v12, s1
	v_cmp_gt_f64_e64 s1, 0, v[4:5]
	v_cndmask_b32_e32 v5, 0, v6, vcc_lo
	s_and_b32 s0, vcc_lo, s0
	s_delay_alu instid0(SALU_CYCLE_1) | instskip(SKIP_1) | instid1(VALU_DEP_2)
	v_cndmask_b32_e64 v1, 0x3ff00000, v3, s0
	v_cndmask_b32_e64 v8, 0, v3, s0
	v_bfi_b32 v1, 0x7fffffff, v7, v1
	s_delay_alu instid0(VALU_DEP_1) | instskip(SKIP_2) | instid1(SALU_CYCLE_1)
	v_cndmask_b32_e32 v4, 0x7ff80000, v1, vcc_lo
	v_cmp_gt_f64_e32 vcc_lo, 0, v[2:3]
	s_xor_b32 s1, s1, s2
	v_cndmask_b32_e64 v7, 0x7ff00000, 0, s1
	s_delay_alu instid0(VALU_DEP_1)
	v_bfi_b32 v7, 0x7fffffff, v7, v8
	v_dual_cndmask_b32 v5, v6, v5, vcc_lo :: v_dual_cndmask_b32 v1, v1, v4, vcc_lo
	s_or_b32 vcc_lo, s2, s3
	s_delay_alu instid0(VALU_DEP_1) | instid1(SALU_CYCLE_1)
	v_cndmask_b32_e64 v5, v5, 0, vcc_lo
	s_delay_alu instid0(VALU_DEP_2) | instskip(SKIP_2) | instid1(VALU_DEP_4)
	v_cndmask_b32_e32 v4, v1, v7, vcc_lo
	v_cmp_o_f64_e32 vcc_lo, v[2:3], v[2:3]
	v_cvt_f64_i32_e32 v[0:1], v0
	v_cndmask_b32_e32 v2, 0, v5, vcc_lo
	s_delay_alu instid0(VALU_DEP_4) | instskip(SKIP_2) | instid1(VALU_DEP_2)
	v_cndmask_b32_e32 v3, 0x7ff80000, v4, vcc_lo
	v_cmp_eq_u32_e32 vcc_lo, s97, v46
	s_add_co_i32 s97, s97, 1
	v_mul_f64_e32 v[0:1], v[2:3], v[0:1]
	s_or_b32 s96, vcc_lo, s96
	s_delay_alu instid0(VALU_DEP_1)
	v_fmac_f64_e32 v[62:63], v[74:75], v[0:1]
	s_and_not1_b32 exec_lo, exec_lo, s96
	s_cbranch_execz .LBB0_223
.LBB0_292:                              ;   Parent Loop BB0_225 Depth=1
                                        ; =>  This Loop Header: Depth=2
                                        ;       Child Loop BB0_294 Depth 3
	v_mov_b64_e32 v[74:75], 0
	s_wait_xcnt 0x0
	s_and_saveexec_b32 s98, s101
	s_cbranch_execz .LBB0_291
; %bb.293:                              ;   in Loop: Header=BB0_292 Depth=2
	v_mov_b64_e32 v[74:75], 0
	s_wait_loadcnt 0x0
	v_dual_mov_b32 v79, v43 :: v_dual_mov_b32 v44, v78
	s_mov_b32 s100, 0
	s_mov_b32 s104, 0
.LBB0_294:                              ;   Parent Loop BB0_225 Depth=1
                                        ;     Parent Loop BB0_292 Depth=2
                                        ; =>    This Inner Loop Header: Depth=3
	v_dual_mov_b32 v31, v40 :: v_dual_mov_b32 v0, v43
	v_mov_b32_e32 v1, s104
	s_mov_b64 s[4:5], s[48:49]
	s_mov_b64 s[6:7], s[38:39]
	;; [unrolled: 1-line block ×4, first 2 shown]
	s_mov_b32 s12, s53
	s_mov_b32 s13, s52
	;; [unrolled: 1-line block ×4, first 2 shown]
	s_swap_pc_i64 s[30:31], s[68:69]
	v_cvt_f64_i32_e32 v[2:3], v79
	s_add_co_i32 s104, s104, 1
	v_add_nc_u32_e32 v79, -1, v79
	s_delay_alu instid0(VALU_DEP_2) | instskip(NEXT) | instid1(VALU_DEP_3)
	v_cndmask_b32_e64 v5, v3, 0x3ff00000, s82
	v_cndmask_b32_e64 v4, v2, 0, s82
	s_delay_alu instid0(VALU_DEP_1) | instskip(SKIP_2) | instid1(VALU_DEP_1)
	v_cmp_neq_f64_e32 vcc_lo, 0, v[4:5]
	v_cndmask_b32_e32 v3, 0x3ff00000, v95, vcc_lo
	v_cndmask_b32_e32 v2, 0, v94, vcc_lo
	v_frexp_mant_f64_e64 v[6:7], |v[2:3]|
	s_delay_alu instid0(VALU_DEP_1) | instskip(SKIP_1) | instid1(VALU_DEP_1)
	v_cmp_gt_f64_e32 vcc_lo, s[102:103], v[6:7]
	v_cndmask_b32_e64 v1, 0, 1, vcc_lo
	v_ldexp_f64 v[6:7], v[6:7], v1
	s_delay_alu instid0(VALU_DEP_1) | instskip(SKIP_1) | instid1(VALU_DEP_2)
	v_add_f64_e32 v[8:9], 1.0, v[6:7]
	v_add_f64_e32 v[14:15], -1.0, v[6:7]
	v_rcp_f64_e32 v[10:11], v[8:9]
	v_add_f64_e32 v[16:17], -1.0, v[8:9]
	v_frexp_exp_i32_f64_e32 v1, v[2:3]
	s_delay_alu instid0(VALU_DEP_2) | instskip(NEXT) | instid1(VALU_DEP_2)
	v_add_f64_e64 v[6:7], v[6:7], -v[16:17]
	v_subrev_co_ci_u32_e64 v1, null, 0, v1, vcc_lo
	s_delay_alu instid0(TRANS32_DEP_1) | instskip(NEXT) | instid1(VALU_DEP_1)
	v_fma_f64 v[12:13], -v[8:9], v[10:11], 1.0
	v_fmac_f64_e32 v[10:11], v[12:13], v[10:11]
	s_delay_alu instid0(VALU_DEP_1) | instskip(NEXT) | instid1(VALU_DEP_1)
	v_fma_f64 v[12:13], -v[8:9], v[10:11], 1.0
	v_fmac_f64_e32 v[10:11], v[12:13], v[10:11]
	s_delay_alu instid0(VALU_DEP_1) | instskip(NEXT) | instid1(VALU_DEP_1)
	v_mul_f64_e32 v[12:13], v[14:15], v[10:11]
	v_mul_f64_e32 v[18:19], v[8:9], v[12:13]
	s_delay_alu instid0(VALU_DEP_1) | instskip(NEXT) | instid1(VALU_DEP_1)
	v_fma_f64 v[8:9], v[12:13], v[8:9], -v[18:19]
	v_fmac_f64_e32 v[8:9], v[12:13], v[6:7]
	s_delay_alu instid0(VALU_DEP_1) | instskip(NEXT) | instid1(VALU_DEP_1)
	v_add_f64_e32 v[6:7], v[18:19], v[8:9]
	v_add_f64_e64 v[16:17], v[14:15], -v[6:7]
	v_add_f64_e64 v[18:19], v[6:7], -v[18:19]
	s_delay_alu instid0(VALU_DEP_2) | instskip(NEXT) | instid1(VALU_DEP_2)
	v_add_f64_e64 v[14:15], v[14:15], -v[16:17]
	v_add_f64_e64 v[8:9], v[18:19], -v[8:9]
	s_delay_alu instid0(VALU_DEP_2) | instskip(NEXT) | instid1(VALU_DEP_1)
	v_add_f64_e64 v[6:7], v[14:15], -v[6:7]
	v_add_f64_e32 v[6:7], v[8:9], v[6:7]
	s_delay_alu instid0(VALU_DEP_1) | instskip(NEXT) | instid1(VALU_DEP_1)
	v_add_f64_e32 v[6:7], v[16:17], v[6:7]
	v_mul_f64_e32 v[6:7], v[10:11], v[6:7]
	s_delay_alu instid0(VALU_DEP_1) | instskip(NEXT) | instid1(VALU_DEP_1)
	v_add_f64_e32 v[8:9], v[12:13], v[6:7]
	v_add_f64_e64 v[10:11], v[8:9], -v[12:13]
	v_mul_f64_e32 v[12:13], v[8:9], v[8:9]
	s_delay_alu instid0(VALU_DEP_2) | instskip(NEXT) | instid1(VALU_DEP_2)
	v_add_f64_e64 v[6:7], v[6:7], -v[10:11]
	v_fma_f64 v[10:11], v[8:9], v[8:9], -v[12:13]
	s_delay_alu instid0(VALU_DEP_2) | instskip(NEXT) | instid1(VALU_DEP_1)
	v_add_f64_e32 v[14:15], v[6:7], v[6:7]
	v_fmac_f64_e32 v[10:11], v[8:9], v[14:15]
	s_delay_alu instid0(VALU_DEP_1) | instskip(NEXT) | instid1(VALU_DEP_1)
	v_add_f64_e32 v[14:15], v[12:13], v[10:11]
	v_fmamk_f64 v[16:17], v[14:15], 0x3fbdee674222de17, v[90:91]
	v_add_f64_e64 v[12:13], v[14:15], -v[12:13]
	v_mul_f64_e32 v[20:21], v[8:9], v[14:15]
	s_delay_alu instid0(VALU_DEP_3) | instskip(NEXT) | instid1(VALU_DEP_1)
	v_fmaak_f64 v[16:17], v[14:15], v[16:17], 0x3fbe25e43abe935a
	v_fmaak_f64 v[16:17], v[14:15], v[16:17], 0x3fc110ef47e6c9c2
	s_delay_alu instid0(VALU_DEP_1) | instskip(NEXT) | instid1(VALU_DEP_1)
	v_fmaak_f64 v[16:17], v[14:15], v[16:17], 0x3fc3b13bcfa74449
	v_fmaak_f64 v[16:17], v[14:15], v[16:17], 0x3fc745d171bf3c30
	v_add_f64_e64 v[10:11], v[10:11], -v[12:13]
	v_fma_f64 v[24:25], v[14:15], v[8:9], -v[20:21]
	s_delay_alu instid0(VALU_DEP_3) | instskip(NEXT) | instid1(VALU_DEP_1)
	v_fmaak_f64 v[16:17], v[14:15], v[16:17], 0x3fcc71c71c7792ce
	v_fmaak_f64 v[16:17], v[14:15], v[16:17], 0x3fd24924924920da
	s_delay_alu instid0(VALU_DEP_1) | instskip(NEXT) | instid1(VALU_DEP_1)
	v_fmaak_f64 v[16:17], v[14:15], v[16:17], 0x3fd999999999999c
	v_mul_f64_e32 v[18:19], v[14:15], v[16:17]
	v_fmac_f64_e32 v[24:25], v[14:15], v[6:7]
	v_ldexp_f64 v[6:7], v[6:7], 1
	s_delay_alu instid0(VALU_DEP_3) | instskip(NEXT) | instid1(VALU_DEP_3)
	v_fma_f64 v[12:13], v[14:15], v[16:17], -v[18:19]
	v_fmac_f64_e32 v[24:25], v[10:11], v[8:9]
	v_ldexp_f64 v[8:9], v[8:9], 1
	s_delay_alu instid0(VALU_DEP_3) | instskip(NEXT) | instid1(VALU_DEP_1)
	v_fmac_f64_e32 v[12:13], v[10:11], v[16:17]
	v_add_f64_e32 v[16:17], v[18:19], v[12:13]
	s_delay_alu instid0(VALU_DEP_1) | instskip(SKIP_1) | instid1(VALU_DEP_2)
	v_add_f64_e32 v[22:23], 0x3fe5555555555555, v[16:17]
	v_add_f64_e64 v[18:19], v[16:17], -v[18:19]
	v_add_f64_e32 v[26:27], 0xbfe5555555555555, v[22:23]
	s_delay_alu instid0(VALU_DEP_2) | instskip(NEXT) | instid1(VALU_DEP_2)
	v_add_f64_e64 v[12:13], v[12:13], -v[18:19]
	v_add_f64_e64 v[14:15], v[16:17], -v[26:27]
	s_delay_alu instid0(VALU_DEP_2) | instskip(NEXT) | instid1(VALU_DEP_1)
	v_add_f64_e32 v[12:13], 0x3c8543b0d5df274d, v[12:13]
	v_add_f64_e32 v[10:11], v[12:13], v[14:15]
	;; [unrolled: 1-line block ×3, first 2 shown]
	s_delay_alu instid0(VALU_DEP_2) | instskip(NEXT) | instid1(VALU_DEP_2)
	v_add_f64_e32 v[14:15], v[22:23], v[10:11]
	v_add_f64_e64 v[20:21], v[12:13], -v[20:21]
	s_delay_alu instid0(VALU_DEP_2) | instskip(SKIP_1) | instid1(VALU_DEP_3)
	v_add_f64_e64 v[16:17], v[22:23], -v[14:15]
	v_mul_f64_e32 v[18:19], v[12:13], v[14:15]
	v_add_f64_e64 v[20:21], v[24:25], -v[20:21]
	s_delay_alu instid0(VALU_DEP_3) | instskip(NEXT) | instid1(VALU_DEP_3)
	v_add_f64_e32 v[10:11], v[10:11], v[16:17]
	v_fma_f64 v[16:17], v[12:13], v[14:15], -v[18:19]
	s_delay_alu instid0(VALU_DEP_1) | instskip(SKIP_1) | instid1(VALU_DEP_2)
	v_fmac_f64_e32 v[16:17], v[12:13], v[10:11]
	v_cvt_f64_i32_e32 v[12:13], v1
	v_fmac_f64_e32 v[16:17], v[20:21], v[14:15]
	s_delay_alu instid0(VALU_DEP_2) | instskip(NEXT) | instid1(VALU_DEP_2)
	v_mul_f64_e32 v[20:21], 0x3fe62e42fefa39ef, v[12:13]
	v_add_f64_e32 v[10:11], v[18:19], v[16:17]
	s_delay_alu instid0(VALU_DEP_1) | instskip(SKIP_1) | instid1(VALU_DEP_2)
	v_add_f64_e32 v[14:15], v[8:9], v[10:11]
	v_add_f64_e64 v[18:19], v[10:11], -v[18:19]
	v_add_f64_e64 v[8:9], v[14:15], -v[8:9]
	s_delay_alu instid0(VALU_DEP_2) | instskip(SKIP_1) | instid1(VALU_DEP_3)
	v_add_f64_e64 v[16:17], v[16:17], -v[18:19]
	v_fma_f64 v[18:19], v[12:13], s[64:65], -v[20:21]
	v_add_f64_e64 v[8:9], v[10:11], -v[8:9]
	s_delay_alu instid0(VALU_DEP_3) | instskip(NEXT) | instid1(VALU_DEP_3)
	v_add_f64_e32 v[6:7], v[6:7], v[16:17]
	v_fmac_f64_e32 v[18:19], 0x3c7abc9e3b39803f, v[12:13]
	s_delay_alu instid0(VALU_DEP_2) | instskip(NEXT) | instid1(VALU_DEP_2)
	v_add_f64_e32 v[6:7], v[6:7], v[8:9]
	v_add_f64_e32 v[8:9], v[20:21], v[18:19]
	s_delay_alu instid0(VALU_DEP_2) | instskip(NEXT) | instid1(VALU_DEP_2)
	v_add_f64_e32 v[10:11], v[14:15], v[6:7]
	v_add_f64_e64 v[20:21], v[8:9], -v[20:21]
	s_delay_alu instid0(VALU_DEP_2) | instskip(SKIP_1) | instid1(VALU_DEP_3)
	v_add_f64_e32 v[12:13], v[8:9], v[10:11]
	v_add_f64_e64 v[14:15], v[10:11], -v[14:15]
	v_add_f64_e64 v[18:19], v[18:19], -v[20:21]
	s_delay_alu instid0(VALU_DEP_3) | instskip(NEXT) | instid1(VALU_DEP_3)
	v_add_f64_e64 v[16:17], v[12:13], -v[8:9]
	v_add_f64_e64 v[6:7], v[6:7], -v[14:15]
	s_delay_alu instid0(VALU_DEP_2) | instskip(SKIP_1) | instid1(VALU_DEP_3)
	v_add_f64_e64 v[22:23], v[12:13], -v[16:17]
	v_add_f64_e64 v[10:11], v[10:11], -v[16:17]
	v_add_f64_e32 v[14:15], v[18:19], v[6:7]
	s_delay_alu instid0(VALU_DEP_3) | instskip(NEXT) | instid1(VALU_DEP_1)
	v_add_f64_e64 v[8:9], v[8:9], -v[22:23]
	v_add_f64_e32 v[8:9], v[10:11], v[8:9]
	s_delay_alu instid0(VALU_DEP_3) | instskip(NEXT) | instid1(VALU_DEP_2)
	v_add_f64_e64 v[10:11], v[14:15], -v[18:19]
	v_add_f64_e32 v[8:9], v[14:15], v[8:9]
	s_delay_alu instid0(VALU_DEP_2) | instskip(SKIP_1) | instid1(VALU_DEP_3)
	v_add_f64_e64 v[14:15], v[14:15], -v[10:11]
	v_add_f64_e64 v[6:7], v[6:7], -v[10:11]
	v_add_f64_e32 v[16:17], v[12:13], v[8:9]
	s_delay_alu instid0(VALU_DEP_3)
	v_add_f64_e64 v[10:11], v[18:19], -v[14:15]
	scratch_load_b64 v[18:19], v44, off
	s_wait_xcnt 0x0
	v_add_nc_u32_e32 v44, 56, v44
	v_add_f64_e64 v[12:13], v[16:17], -v[12:13]
	v_add_f64_e32 v[6:7], v[6:7], v[10:11]
	s_delay_alu instid0(VALU_DEP_2) | instskip(NEXT) | instid1(VALU_DEP_1)
	v_add_f64_e64 v[8:9], v[8:9], -v[12:13]
	v_add_f64_e32 v[6:7], v[6:7], v[8:9]
	s_delay_alu instid0(VALU_DEP_1) | instskip(NEXT) | instid1(VALU_DEP_1)
	v_add_f64_e32 v[8:9], v[16:17], v[6:7]
	v_add_f64_e64 v[10:11], v[8:9], -v[16:17]
	v_mul_f64_e32 v[12:13], v[4:5], v[8:9]
	s_delay_alu instid0(VALU_DEP_2) | instskip(NEXT) | instid1(VALU_DEP_2)
	v_add_f64_e64 v[6:7], v[6:7], -v[10:11]
	v_fma_f64 v[8:9], v[4:5], v[8:9], -v[12:13]
	v_cmp_class_f64_e64 vcc_lo, v[12:13], 0x204
	s_delay_alu instid0(VALU_DEP_2) | instskip(NEXT) | instid1(VALU_DEP_1)
	v_fmac_f64_e32 v[8:9], v[4:5], v[6:7]
	v_add_f64_e32 v[6:7], v[12:13], v[8:9]
	s_delay_alu instid0(VALU_DEP_1) | instskip(SKIP_1) | instid1(VALU_DEP_2)
	v_dual_cndmask_b32 v11, v7, v13 :: v_dual_cndmask_b32 v10, v6, v12
	v_add_f64_e64 v[6:7], v[6:7], -v[12:13]
	v_mul_f64_e32 v[14:15], 0x3ff71547652b82fe, v[10:11]
	v_cmp_nlt_f64_e64 s0, 0x40900000, v[10:11]
	v_cmp_neq_f64_e64 vcc_lo, 0x7ff00000, |v[10:11]|
	v_cmp_ngt_f64_e64 s1, 0xc090cc00, v[10:11]
	v_add_f64_e64 v[6:7], v[8:9], -v[6:7]
	v_rndne_f64_e32 v[14:15], v[14:15]
	s_delay_alu instid0(VALU_DEP_2) | instskip(SKIP_1) | instid1(VALU_DEP_2)
	v_dual_cndmask_b32 v7, 0, v7 :: v_dual_cndmask_b32 v6, 0, v6
	s_and_b32 vcc_lo, s1, s0
	v_fmamk_f64 v[16:17], v[14:15], 0xbfe62e42fefa39ef, v[10:11]
	v_cvt_i32_f64_e32 v1, v[14:15]
	s_delay_alu instid0(VALU_DEP_2) | instskip(NEXT) | instid1(VALU_DEP_1)
	v_fmac_f64_e32 v[16:17], 0xbc7abc9e3b39803f, v[14:15]
	v_fmamk_f64 v[20:21], v[16:17], 0x3e5ade156a5dcb37, v[104:105]
	s_delay_alu instid0(VALU_DEP_1) | instskip(NEXT) | instid1(VALU_DEP_1)
	v_fmaak_f64 v[20:21], v[16:17], v[20:21], 0x3ec71dee623fde64
	v_fmaak_f64 v[20:21], v[16:17], v[20:21], 0x3efa01997c89e6b0
	s_delay_alu instid0(VALU_DEP_1) | instskip(NEXT) | instid1(VALU_DEP_1)
	v_fmaak_f64 v[20:21], v[16:17], v[20:21], 0x3f2a01a014761f6e
	v_fmaak_f64 v[20:21], v[16:17], v[20:21], 0x3f56c16c1852b7b0
	;; [unrolled: 3-line block ×4, first 2 shown]
	s_delay_alu instid0(VALU_DEP_1) | instskip(NEXT) | instid1(VALU_DEP_1)
	v_fma_f64 v[20:21], v[16:17], v[20:21], 1.0
	v_fma_f64 v[14:15], v[16:17], v[20:21], 1.0
	v_trunc_f64_e32 v[16:17], v[4:5]
	s_delay_alu instid0(VALU_DEP_2) | instskip(SKIP_1) | instid1(VALU_DEP_3)
	v_ldexp_f64 v[12:13], v[14:15], v1
	v_mul_f64_e32 v[14:15], 0.5, v[4:5]
	v_cmp_eq_f64_e64 s2, v[16:17], v[4:5]
	s_delay_alu instid0(VALU_DEP_3) | instskip(NEXT) | instid1(VALU_DEP_3)
	v_cndmask_b32_e64 v1, 0x7ff00000, v13, s0
	v_trunc_f64_e32 v[8:9], v[14:15]
	v_cmp_gt_f64_e64 s0, 0, v[4:5]
	s_delay_alu instid0(VALU_DEP_2) | instskip(NEXT) | instid1(VALU_DEP_4)
	v_cmp_neq_f64_e64 s3, v[8:9], v[14:15]
	v_dual_cndmask_b32 v9, 0, v1, s1 :: v_dual_cndmask_b32 v8, 0, v12, vcc_lo
	v_cmp_eq_f64_e64 s1, 0, v[2:3]
	s_delay_alu instid0(VALU_DEP_2) | instskip(SKIP_2) | instid1(SALU_CYCLE_1)
	v_fma_f64 v[6:7], v[8:9], v[6:7], v[8:9]
	v_cmp_class_f64_e64 vcc_lo, v[8:9], 0x204
	s_and_b32 s3, s2, s3
	v_cndmask_b32_e64 v1, 0x3ff00000, v3, s3
	s_xor_b32 s0, s0, s1
	v_dual_cndmask_b32 v5, v7, v9 :: v_dual_cndmask_b32 v4, v6, v8
	v_cmp_gt_f64_e32 vcc_lo, 0, v[2:3]
	v_cndmask_b32_e64 v7, 0x7ff00000, 0, s0
	v_cndmask_b32_e64 v8, 0, v3, s3
	s_delay_alu instid0(VALU_DEP_4) | instskip(SKIP_1) | instid1(VALU_DEP_3)
	v_bfi_b32 v1, 0x7fffffff, v5, v1
	v_cndmask_b32_e64 v6, 0, v4, s2
	v_bfi_b32 v7, 0x7fffffff, v7, v8
	s_delay_alu instid0(VALU_DEP_3) | instskip(SKIP_1) | instid1(VALU_DEP_2)
	v_cndmask_b32_e64 v5, 0x7ff80000, v1, s2
	v_cmp_class_f64_e64 s2, v[2:3], 0x204
	v_dual_cndmask_b32 v4, v4, v6 :: v_dual_cndmask_b32 v1, v1, v5
	s_or_b32 vcc_lo, s1, s2
	s_delay_alu instid0(VALU_DEP_1) | instskip(NEXT) | instid1(VALU_DEP_2)
	v_cndmask_b32_e32 v5, v1, v7, vcc_lo
	v_cndmask_b32_e64 v4, v4, 0, vcc_lo
	v_cmp_o_f64_e32 vcc_lo, v[2:3], v[2:3]
	v_cvt_f64_i32_e32 v[0:1], v0
	s_delay_alu instid0(VALU_DEP_3) | instskip(SKIP_2) | instid1(VALU_DEP_2)
	v_cndmask_b32_e32 v2, 0, v4, vcc_lo
	v_cndmask_b32_e32 v3, 0x7ff80000, v5, vcc_lo
	v_cmp_eq_u32_e32 vcc_lo, -1, v79
	v_mul_f64_e32 v[0:1], v[2:3], v[0:1]
	s_or_b32 s100, vcc_lo, s100
	s_wait_loadcnt 0x0
	s_delay_alu instid0(VALU_DEP_1)
	v_fmac_f64_e32 v[74:75], v[18:19], v[0:1]
	s_and_not1_b32 exec_lo, exec_lo, s100
	s_cbranch_execnz .LBB0_294
; %bb.295:                              ;   in Loop: Header=BB0_292 Depth=2
	s_or_b32 exec_lo, exec_lo, s100
	s_branch .LBB0_291
.LBB0_296:
	s_or_b32 exec_lo, exec_lo, s86
	s_clause 0x4
	scratch_load_b128 v[92:95], off, s33 offset:892
	scratch_load_b128 v[104:107], off, s33 offset:908
	;; [unrolled: 1-line block ×4, first 2 shown]
	scratch_load_b64 v[96:97], off, s33 offset:956
	v_readlane_b32 s1, v125, 0
.LBB0_297:
	s_wait_xcnt 0x0
	s_delay_alu instid0(VALU_DEP_1)
	s_or_b32 exec_lo, exec_lo, s1
	s_wait_loadcnt 0x0
	v_cmp_gt_f64_e32 vcc_lo, 0x10000000, v[96:97]
	v_readlane_b32 s30, v126, 7
	v_readlane_b32 s31, v126, 8
	;; [unrolled: 1-line block ×31, first 2 shown]
	v_cndmask_b32_e64 v0, 0, 0x100, vcc_lo
	v_readlane_b32 s51, v127, 9
	v_readlane_b32 s50, v127, 8
	;; [unrolled: 1-line block ×4, first 2 shown]
	v_ldexp_f64 v[0:1], v[96:97], v0
	v_readlane_b32 s39, v127, 5
	v_readlane_b32 s38, v127, 4
	;; [unrolled: 1-line block ×6, first 2 shown]
	s_mov_b32 s32, s33
	v_readlane_b32 s0, v126, 9
	v_rsq_f64_e32 v[2:3], v[0:1]
	v_nop
	s_delay_alu instid0(TRANS32_DEP_1) | instskip(SKIP_1) | instid1(VALU_DEP_1)
	v_mul_f64_e32 v[4:5], v[0:1], v[2:3]
	v_mul_f64_e32 v[2:3], 0.5, v[2:3]
	v_fma_f64 v[6:7], -v[2:3], v[4:5], 0.5
	s_delay_alu instid0(VALU_DEP_1) | instskip(SKIP_1) | instid1(VALU_DEP_2)
	v_fmac_f64_e32 v[4:5], v[4:5], v[6:7]
	v_fmac_f64_e32 v[2:3], v[2:3], v[6:7]
	v_fma_f64 v[6:7], -v[4:5], v[4:5], v[0:1]
	s_delay_alu instid0(VALU_DEP_1) | instskip(NEXT) | instid1(VALU_DEP_1)
	v_fmac_f64_e32 v[4:5], v[6:7], v[2:3]
	v_fma_f64 v[6:7], -v[4:5], v[4:5], v[0:1]
	s_delay_alu instid0(VALU_DEP_1) | instskip(SKIP_2) | instid1(VALU_DEP_2)
	v_fmac_f64_e32 v[4:5], v[6:7], v[2:3]
	v_cndmask_b32_e64 v2, 0, 0xffffff80, vcc_lo
	v_cmp_class_f64_e64 vcc_lo, v[0:1], 0x260
	v_ldexp_f64 v[2:3], v[4:5], v2
	s_delay_alu instid0(VALU_DEP_1) | instskip(NEXT) | instid1(VALU_DEP_1)
	v_dual_cndmask_b32 v1, v3, v1 :: v_dual_cndmask_b32 v0, v2, v0
	v_mul_f64_e32 v[0:1], 0x3ff20dd750429b6d, v[0:1]
	s_delay_alu instid0(VALU_DEP_1) | instskip(NEXT) | instid1(VALU_DEP_1)
	v_mul_f64_e32 v[0:1], v[106:107], v[0:1]
	v_mul_f64_e32 v[0:1], v[94:95], v[0:1]
	s_delay_alu instid0(VALU_DEP_1) | instskip(NEXT) | instid1(VALU_DEP_1)
	v_mul_f64_e32 v[0:1], v[122:123], v[0:1]
	v_mul_f64_e32 v[0:1], v[110:111], v[0:1]
	s_clause 0x2c
	scratch_load_b32 v124, off, s33
	scratch_load_b32 v123, off, s33 offset:4
	scratch_load_b32 v122, off, s33 offset:8
	;; [unrolled: 1-line block ×44, first 2 shown]
	v_mul_f64_e32 v[0:1], v[0:1], v[14:15]
	s_wait_xcnt 0x0
	s_or_saveexec_b32 s1, -1
	s_clause 0x2
	scratch_load_b32 v127, off, s33 offset:964
	scratch_load_b32 v126, off, s33 offset:968
	scratch_load_b32 v125, off, s33 offset:972
	s_wait_xcnt 0x0
	s_mov_b32 exec_lo, s1
	s_mov_b32 s33, s0
	s_wait_loadcnt 0x0
	s_set_pc_i64 s[30:31]
.LBB0_298:
	s_or_b32 exec_lo, exec_lo, s0
                                        ; implicit-def: $vgpr14_vgpr15
	s_and_not1_saveexec_b32 s0, s5
	s_cbranch_execnz .LBB0_175
.LBB0_299:
	s_or_b32 exec_lo, exec_lo, s0
                                        ; implicit-def: $vgpr14_vgpr15
	s_and_not1_saveexec_b32 s0, s4
	s_cbranch_execnz .LBB0_189
.LBB0_300:
	s_or_b32 exec_lo, exec_lo, s0
                                        ; implicit-def: $vgpr14_vgpr15
	s_and_not1_saveexec_b32 s0, s3
	s_cbranch_execnz .LBB0_203
	s_branch .LBB0_216
.Lfunc_end0:
	.size	_Z15cuda_rys_pbf_dpPKdS0_S0_S0_, .Lfunc_end0-_Z15cuda_rys_pbf_dpPKdS0_S0_S0_
                                        ; -- End function
	.set .L_Z15cuda_rys_pbf_dpPKdS0_S0_S0_.num_vgpr, max(128, amdgpu.max_num_vgpr)
	.set .L_Z15cuda_rys_pbf_dpPKdS0_S0_S0_.num_agpr, max(0, amdgpu.max_num_agpr)
	.set .L_Z15cuda_rys_pbf_dpPKdS0_S0_S0_.numbered_sgpr, max(105, amdgpu.max_num_sgpr)
	.set .L_Z15cuda_rys_pbf_dpPKdS0_S0_S0_.num_named_barrier, max(0, amdgpu.max_num_named_barrier)
	.set .L_Z15cuda_rys_pbf_dpPKdS0_S0_S0_.private_seg_size, 992
	.set .L_Z15cuda_rys_pbf_dpPKdS0_S0_S0_.uses_vcc, 1
	.set .L_Z15cuda_rys_pbf_dpPKdS0_S0_S0_.uses_flat_scratch, 1
	.set .L_Z15cuda_rys_pbf_dpPKdS0_S0_S0_.has_dyn_sized_stack, 1
	.set .L_Z15cuda_rys_pbf_dpPKdS0_S0_S0_.has_recursion, 1
	.set .L_Z15cuda_rys_pbf_dpPKdS0_S0_S0_.has_indirect_call, 1
	.section	.AMDGPU.csdata,"",@progbits
; Function info:
; codeLenInByte = 75120
; TotalNumSgprs: .L_Z15cuda_rys_pbf_dpPKdS0_S0_S0_.numbered_sgpr+2
; NumVgprs: max(128, amdgpu.max_num_vgpr)
; ScratchSize: 992
; MemoryBound: 0
	.text
	.protected	_Z16cuda_mat_J_PI_dpPKdPKiiS0_PdS0_ ; -- Begin function _Z16cuda_mat_J_PI_dpPKdPKiiS0_PdS0_
	.globl	_Z16cuda_mat_J_PI_dpPKdPKiiS0_PdS0_
	.p2align	8
	.type	_Z16cuda_mat_J_PI_dpPKdPKiiS0_PdS0_,@function
_Z16cuda_mat_J_PI_dpPKdPKiiS0_PdS0_:    ; @_Z16cuda_mat_J_PI_dpPKdPKiiS0_PdS0_
; %bb.0:
	s_mov_b64 s[38:39], s[6:7]
	s_load_b32 s6, s[4:5], 0x10
	s_mov_b64 s[34:35], s[4:5]
	s_mov_b64 s[50:51], s[0:1]
	s_bfe_u32 s1, ttmp6, 0x40010
	s_wait_xcnt 0x0
	s_bfe_u32 s4, ttmp6, 0x4000c
	s_and_b32 s0, ttmp7, 0xffff
	s_add_co_i32 s1, s1, 1
	s_add_co_i32 s4, s4, 1
	s_mov_b64 s[48:49], s[2:3]
	s_bfe_u32 s2, ttmp6, 0x40004
	s_and_b32 s3, ttmp6, 15
	s_mul_i32 s1, s0, s1
	s_mul_i32 s4, ttmp9, s4
	s_getreg_b32 s5, hwreg(HW_REG_IB_STS2, 6, 4)
	s_add_co_i32 s2, s2, s1
	s_add_co_i32 s3, s3, s4
	s_cmp_eq_u32 s5, 0
	s_mov_b32 s32, 64
	s_cselect_b32 s36, ttmp9, s3
	s_cselect_b32 s33, s0, s2
	s_wait_kmcnt 0x0
	s_cmp_ge_i32 s36, s6
	s_cselect_b32 s0, -1, 0
	s_cmp_gt_i32 s33, s36
	s_cselect_b32 s1, -1, 0
	s_delay_alu instid0(SALU_CYCLE_1) | instskip(NEXT) | instid1(SALU_CYCLE_1)
	s_or_b32 s0, s1, s0
	s_and_b32 vcc_lo, exec_lo, s0
	s_cbranch_vccnz .LBB1_11
; %bb.1:
	s_clause 0x1
	s_load_b64 s[52:53], s[34:35], 0x8
	s_load_b64 s[0:1], s[34:35], 0x20
                                        ; implicit-def: $vgpr62 : SGPR spill to VGPR lane
	v_dual_mov_b32 v43, v0 :: v_dual_mov_b32 v31, v0
	v_dual_mov_b32 v0, s36 :: v_dual_mov_b32 v1, s33
	s_add_nc_u64 s[54:55], s[34:35], 48
	s_get_pc_i64 s[64:65]
	s_add_nc_u64 s[64:65], s[64:65], _Z16cuda_ij2intindexii@rel64+4
	s_mov_b64 s[4:5], s[50:51]
	s_mov_b64 s[8:9], s[54:55]
	;; [unrolled: 1-line block ×3, first 2 shown]
	s_wait_kmcnt 0x0
	v_writelane_b32 v62, s0, 0
	v_writelane_b32 v62, s1, 1
	;; [unrolled: 1-line block ×3, first 2 shown]
	s_mov_b64 s[6:7], s[48:49]
	s_swap_pc_i64 s[30:31], s[64:65]
	s_ashr_i32 s37, s36, 31
	v_dual_mov_b32 v42, v0 :: v_dual_mov_b32 v31, v43
	s_lshl_b64 s[0:1], s[36:37], 2
	s_mov_b64 s[4:5], s[50:51]
	s_add_nc_u64 s[0:1], s[52:53], s[0:1]
	v_writelane_b32 v62, s52, 3
	s_clause 0x1
	s_load_b32 s2, s[0:1], 0x0
	s_load_b32 s3, s[52:53], s33 offset:0x0 scale_offset
	s_mov_b64 s[6:7], s[48:49]
	s_mov_b64 s[8:9], s[54:55]
	;; [unrolled: 1-line block ×3, first 2 shown]
	v_writelane_b32 v62, s53, 4
                                        ; kill: killed $sgpr0_sgpr1
	s_wait_kmcnt 0x0
	v_dual_mov_b32 v0, s2 :: v_dual_mov_b32 v1, s3
	s_swap_pc_i64 s[30:31], s[64:65]
	s_load_b32 s0, s[34:35], 0x10
	v_bfe_u32 v45, v43, 10, 10
	v_and_b32_e32 v46, 0x3ff, v43
	v_mov_b64_e32 v[2:3], 0
	s_delay_alu instid0(VALU_DEP_3) | instskip(NEXT) | instid1(VALU_DEP_1)
	v_lshlrev_b32_e32 v47, 3, v45
	v_lshl_add_u32 v56, v46, 6, v47
	ds_store_b64 v56, v[2:3]
	s_wait_kmcnt 0x0
	v_cmp_gt_i32_e32 vcc_lo, s0, v46
	s_mov_b32 s0, exec_lo
	s_delay_alu instid0(SALU_CYCLE_1) | instskip(SKIP_1) | instid1(SALU_CYCLE_1)
	v_writelane_b32 v62, s0, 5
	s_and_b32 s0, s0, vcc_lo
	s_mov_b32 exec_lo, s0
	s_cbranch_execz .LBB1_9
; %bb.2:
	s_clause 0x2
	s_load_b64 s[52:53], s[34:35], 0x28
	s_load_b64 s[4:5], s[34:35], 0x0
	;; [unrolled: 1-line block ×3, first 2 shown]
	s_get_pc_i64 s[2:3]
	s_add_nc_u64 s[2:3], s[2:3], _Z15cuda_rys_pbf_dpPKdS0_S0_S0_@rel64+4
	s_lshl_b32 s6, s33, 6
	s_mov_b32 s7, 0
	v_dual_ashrrev_i32 v1, 31, v0 :: v_dual_lshlrev_b32 v60, 2, v45
	v_dual_mov_b32 v61, 0 :: v_dual_mov_b32 v57, v46
                                        ; kill: killed $sgpr34_sgpr35
	s_wait_kmcnt 0x0
	s_delay_alu instid0(VALU_DEP_2) | instskip(SKIP_4) | instid1(SALU_CYCLE_1)
	v_lshl_add_u64 v[0:1], v[0:1], 3, s[52:53]
	v_writelane_b32 v62, s0, 6
	scratch_store_b64 off, v[0:1], off offset:4 ; 8-byte Folded Spill
	v_writelane_b32 v62, s1, 7
	s_lshl_b32 s0, s36, 3
	s_ashr_i32 s1, s0, 31
	v_writelane_b32 v62, s2, 8
	s_lshl_b64 s[0:1], s[0:1], 3
	s_delay_alu instid0(SALU_CYCLE_1) | instskip(SKIP_1) | instid1(VALU_DEP_1)
	s_add_nc_u64 s[0:1], s[4:5], s[0:1]
	v_writelane_b32 v62, s3, 9
	v_readlane_b32 s2, v62, 3
	v_readlane_b32 s3, v62, 4
	v_writelane_b32 v62, s0, 10
	s_delay_alu instid0(VALU_DEP_2)
	v_add_nc_u64_e32 v[2:3], s[2:3], v[60:61]
	v_writelane_b32 v62, s1, 11
	v_writelane_b32 v62, s4, 12
	s_add_nc_u64 s[0:1], s[4:5], s[6:7]
	scratch_store_b64 off, v[2:3], off offset:40 ; 8-byte Folded Spill
	v_writelane_b32 v62, s5, 13
	v_writelane_b32 v62, s0, 14
	;; [unrolled: 1-line block ×15, first 2 shown]
	s_branch .LBB1_4
.LBB1_3:                                ;   in Loop: Header=BB1_4 Depth=1
	s_delay_alu instid0(VALU_DEP_1)
	v_readlane_b32 s0, v62, 30
	s_or_b32 exec_lo, exec_lo, s0
	v_add_nc_u32_e32 v57, 8, v57
	v_readlane_b32 s0, v62, 2
	v_readlane_b32 s6, v62, 28
	;; [unrolled: 1-line block ×3, first 2 shown]
	s_delay_alu instid0(VALU_DEP_3) | instskip(SKIP_1) | instid1(SALU_CYCLE_1)
	v_cmp_le_i32_e32 vcc_lo, s0, v57
	s_or_b32 s7, vcc_lo, s7
	s_and_not1_b32 exec_lo, exec_lo, s7
	s_cbranch_execz .LBB1_9
.LBB1_4:                                ; =>This Loop Header: Depth=1
                                        ;     Child Loop BB1_7 Depth 2
	v_writelane_b32 v62, s6, 28
	v_cmp_le_u32_e32 vcc_lo, v45, v57
	v_writelane_b32 v62, s7, 29
	s_wait_xcnt 0x0
	s_mov_b32 s0, exec_lo
	s_delay_alu instid0(SALU_CYCLE_1) | instskip(SKIP_1) | instid1(SALU_CYCLE_1)
	v_writelane_b32 v62, s0, 30
	s_and_b32 s0, s0, vcc_lo
	s_mov_b32 exec_lo, s0
	s_cbranch_execz .LBB1_3
; %bb.5:                                ;   in Loop: Header=BB1_4 Depth=1
	s_delay_alu instid0(VALU_DEP_1)
	v_readlane_b32 s0, v62, 3
	v_readlane_b32 s1, v62, 4
	scratch_load_b64 v[40:41], off, off offset:40 ; 8-byte Folded Reload
	v_dual_lshlrev_b32 v60, 3, v57 :: v_dual_mov_b32 v58, v45
	global_load_b32 v44, v57, s[0:1] scale_offset
	s_wait_xcnt 0x0
	v_readlane_b32 s0, v62, 12
	v_readlane_b32 s1, v62, 13
	s_delay_alu instid0(VALU_DEP_1)
	v_lshl_add_u64 v[0:1], v[60:61], 3, s[0:1]
	v_mov_b32_e32 v60, v47
	s_mov_b32 s0, 0
	scratch_store_b64 off, v[0:1], off offset:32 ; 8-byte Folded Spill
	s_branch .LBB1_7
.LBB1_6:                                ;   in Loop: Header=BB1_7 Depth=2
	s_wait_xcnt 0x0
	s_or_saveexec_b32 s105, -1
	scratch_load_b32 v59, off, off th:TH_LOAD_LU ; 4-byte Folded Reload
	s_wait_xcnt 0x0
	s_mov_b32 exec_lo, s105
	s_wait_loadcnt 0x0
	v_readlane_b32 s0, v59, 0
	s_or_b32 exec_lo, exec_lo, s0
	v_dual_add_nc_u32 v58, 8, v58 :: v_dual_add_nc_u32 v60, 64, v60
	v_add_nc_u64_e32 v[40:41], 32, v[40:41]
	v_readlane_b32 s0, v62, 31
	s_delay_alu instid0(VALU_DEP_3) | instskip(SKIP_1) | instid1(SALU_CYCLE_1)
	v_cmp_gt_u32_e32 vcc_lo, v58, v57
	s_or_b32 s0, vcc_lo, s0
	s_and_not1_b32 exec_lo, exec_lo, s0
	s_cbranch_execz .LBB1_3
.LBB1_7:                                ;   Parent Loop BB1_4 Depth=1
                                        ; =>  This Inner Loop Header: Depth=2
	s_wait_loadcnt 0x1
	global_load_b32 v1, v[40:41], off
	s_wait_loadcnt 0x1
	v_dual_mov_b32 v31, v43 :: v_dual_mov_b32 v0, v44
	s_mov_b64 s[4:5], s[50:51]
	s_mov_b64 s[6:7], s[48:49]
	;; [unrolled: 1-line block ×4, first 2 shown]
	v_writelane_b32 v62, s0, 31
	s_swap_pc_i64 s[30:31], s[64:65]
	scratch_load_b64 v[2:3], off, off offset:4 ; 8-byte Folded Reload
	v_readlane_b32 s0, v62, 6
	v_readlane_b32 s1, v62, 7
                                        ; kill: killed $vgpr0
	s_wait_loadcnt 0x0
	s_clause 0x2
	global_load_b64 v[2:3], v[2:3], off
	global_load_b64 v[4:5], v0, s[52:53] scale_offset
	global_load_b64 v[6:7], v0, s[0:1] scale_offset
	s_wait_xcnt 0x0
	s_mov_b64 s[0:1], 0x3c9cd2b297d889bc
	s_wait_loadcnt 0x1
	v_mul_f64_e32 v[0:1], v[2:3], v[4:5]
	s_wait_loadcnt 0x0
	s_delay_alu instid0(VALU_DEP_1) | instskip(NEXT) | instid1(VALU_DEP_1)
	v_mul_f64_e32 v[0:1], v[0:1], v[6:7]
	v_cmp_nlt_f64_e64 s0, |v[0:1]|, s[0:1]
	s_mov_b32 s1, exec_lo
                                        ; implicit-def: $vgpr59 : SGPR spill to VGPR lane
	s_delay_alu instid0(SALU_CYCLE_1)
	v_writelane_b32 v59, s1, 0
	s_or_saveexec_b32 s105, -1
	scratch_store_b32 off, v59, off         ; 4-byte Folded Spill
	s_wait_xcnt 0x0
	s_mov_b32 exec_lo, s105
	s_and_b32 s0, s1, s0
	s_delay_alu instid0(SALU_CYCLE_1)
	s_mov_b32 exec_lo, s0
	s_cbranch_execz .LBB1_6
; %bb.8:                                ;   in Loop: Header=BB1_7 Depth=2
	scratch_load_b64 v[4:5], off, off offset:32 ; 8-byte Folded Reload
	v_readlane_b32 s0, v62, 12
	v_readlane_b32 s1, v62, 13
	scratch_store_b64 off, v[6:7], off offset:24 ; 8-byte Folded Spill
	s_mov_b64 s[4:5], s[50:51]
	s_mov_b64 s[6:7], s[48:49]
	;; [unrolled: 1-line block ×3, first 2 shown]
	s_wait_xcnt 0x0
	v_lshl_add_u64 v[6:7], v[60:61], 3, s[0:1]
	v_readlane_b32 s0, v62, 10
	v_readlane_b32 s1, v62, 11
	v_mov_b32_e32 v31, v43
	s_mov_b64 s[10:11], s[38:39]
	v_dual_mov_b32 v0, s0 :: v_dual_mov_b32 v1, s1
	v_readlane_b32 s0, v62, 14
	v_readlane_b32 s1, v62, 15
	s_delay_alu instid0(VALU_DEP_1)
	v_dual_mov_b32 v2, s0 :: v_dual_mov_b32 v3, s1
	v_readlane_b32 s0, v62, 8
	v_readlane_b32 s1, v62, 9
	s_or_saveexec_b32 s105, -1
	scratch_store_b32 off, v62, off offset:12 ; 4-byte Folded Spill
	s_wait_xcnt 0x0
	s_mov_b32 exec_lo, s105
	scratch_store_b64 off, v[60:61], off offset:16 ; 8-byte Folded Spill
	s_swap_pc_i64 s[30:31], s[0:1]
	scratch_load_b64 v[60:61], off, off offset:16 ; 8-byte Folded Reload
	s_wait_xcnt 0x0
	s_or_saveexec_b32 s105, -1
	scratch_load_b32 v62, off, off offset:12 ; 4-byte Folded Reload
	s_wait_xcnt 0x0
	s_mov_b32 exec_lo, s105
	scratch_load_b64 v[2:3], off, off offset:24 th:TH_LOAD_LU ; 8-byte Folded Reload
	v_cmp_eq_u32_e32 vcc_lo, v57, v58
	s_wait_loadcnt 0x1
	v_readlane_b32 s52, v62, 26
	v_readlane_b32 s64, v62, 24
	;; [unrolled: 1-line block ×4, first 2 shown]
	v_cndmask_b32_e64 v5, 2.0, 0x3ff00000, vcc_lo
	v_readlane_b32 s48, v62, 18
	v_readlane_b32 s38, v62, 16
	;; [unrolled: 1-line block ×8, first 2 shown]
	s_wait_loadcnt 0x0
	v_dual_mul_f64 v[0:1], v[2:3], v[0:1] :: v_dual_mov_b32 v4, v61
	ds_load_b64 v[2:3], v56
	s_wait_dscnt 0x0
	v_fmac_f64_e32 v[2:3], v[4:5], v[0:1]
	ds_store_b64 v56, v[2:3]
	s_branch .LBB1_6
.LBB1_9:
	s_delay_alu instid0(VALU_DEP_1)
	v_readlane_b32 s0, v62, 5
	s_or_b32 exec_lo, exec_lo, s0
	v_or_b32_e32 v0, v46, v45
	s_wait_storecnt_dscnt 0x0
	s_barrier_signal -1
	s_barrier_wait -1
	s_mov_b32 s0, exec_lo
	v_cmpx_eq_u32_e32 0, v0
	s_cbranch_execz .LBB1_11
; %bb.10:
	v_mov_b32_e32 v10, 0
	v_readlane_b32 s0, v62, 0
	v_readlane_b32 s1, v62, 1
	ds_load_b128 v[0:3], v10
	ds_load_b128 v[4:7], v10 offset:16
	s_wait_dscnt 0x1
	v_add_f64_e32 v[0:1], 0, v[0:1]
	s_delay_alu instid0(VALU_DEP_1) | instskip(SKIP_1) | instid1(VALU_DEP_1)
	v_add_f64_e32 v[0:1], v[2:3], v[0:1]
	s_wait_dscnt 0x0
	v_add_f64_e32 v[0:1], v[4:5], v[0:1]
	s_delay_alu instid0(VALU_DEP_1) | instskip(SKIP_4) | instid1(VALU_DEP_1)
	v_add_f64_e32 v[8:9], v[6:7], v[0:1]
	ds_load_b128 v[0:3], v10 offset:32
	ds_load_b128 v[4:7], v10 offset:48
	s_wait_dscnt 0x1
	v_add_f64_e32 v[0:1], v[0:1], v[8:9]
	v_add_f64_e32 v[0:1], v[2:3], v[0:1]
	s_wait_dscnt 0x0
	s_delay_alu instid0(VALU_DEP_1) | instskip(NEXT) | instid1(VALU_DEP_1)
	v_add_f64_e32 v[0:1], v[4:5], v[0:1]
	v_add_f64_e32 v[8:9], v[6:7], v[0:1]
	ds_load_b128 v[0:3], v10 offset:64
	ds_load_b128 v[4:7], v10 offset:80
	s_wait_dscnt 0x1
	v_add_f64_e32 v[0:1], v[0:1], v[8:9]
	s_delay_alu instid0(VALU_DEP_1) | instskip(SKIP_1) | instid1(VALU_DEP_1)
	v_add_f64_e32 v[0:1], v[2:3], v[0:1]
	s_wait_dscnt 0x0
	v_add_f64_e32 v[0:1], v[4:5], v[0:1]
	s_delay_alu instid0(VALU_DEP_1) | instskip(SKIP_4) | instid1(VALU_DEP_1)
	v_add_f64_e32 v[8:9], v[6:7], v[0:1]
	ds_load_b128 v[0:3], v10 offset:96
	ds_load_b128 v[4:7], v10 offset:112
	s_wait_dscnt 0x1
	v_add_f64_e32 v[0:1], v[0:1], v[8:9]
	v_add_f64_e32 v[0:1], v[2:3], v[0:1]
	s_wait_dscnt 0x0
	s_delay_alu instid0(VALU_DEP_1) | instskip(NEXT) | instid1(VALU_DEP_1)
	v_add_f64_e32 v[0:1], v[4:5], v[0:1]
	v_add_f64_e32 v[8:9], v[6:7], v[0:1]
	ds_load_b128 v[0:3], v10 offset:128
	ds_load_b128 v[4:7], v10 offset:144
	s_wait_dscnt 0x1
	v_add_f64_e32 v[0:1], v[0:1], v[8:9]
	s_delay_alu instid0(VALU_DEP_1) | instskip(SKIP_1) | instid1(VALU_DEP_1)
	v_add_f64_e32 v[0:1], v[2:3], v[0:1]
	s_wait_dscnt 0x0
	v_add_f64_e32 v[0:1], v[4:5], v[0:1]
	s_delay_alu instid0(VALU_DEP_1) | instskip(SKIP_4) | instid1(VALU_DEP_1)
	v_add_f64_e32 v[8:9], v[6:7], v[0:1]
	ds_load_b128 v[0:3], v10 offset:160
	ds_load_b128 v[4:7], v10 offset:176
	s_wait_dscnt 0x1
	v_add_f64_e32 v[0:1], v[0:1], v[8:9]
	v_add_f64_e32 v[0:1], v[2:3], v[0:1]
	s_wait_dscnt 0x0
	s_delay_alu instid0(VALU_DEP_1) | instskip(NEXT) | instid1(VALU_DEP_1)
	v_add_f64_e32 v[0:1], v[4:5], v[0:1]
	v_add_f64_e32 v[8:9], v[6:7], v[0:1]
	ds_load_b128 v[0:3], v10 offset:192
	ds_load_b128 v[4:7], v10 offset:208
	s_wait_dscnt 0x1
	v_add_f64_e32 v[0:1], v[0:1], v[8:9]
	s_delay_alu instid0(VALU_DEP_1) | instskip(SKIP_1) | instid1(VALU_DEP_1)
	v_add_f64_e32 v[0:1], v[2:3], v[0:1]
	s_wait_dscnt 0x0
	v_add_f64_e32 v[0:1], v[4:5], v[0:1]
	s_delay_alu instid0(VALU_DEP_1) | instskip(SKIP_4) | instid1(VALU_DEP_1)
	v_add_f64_e32 v[8:9], v[6:7], v[0:1]
	ds_load_b128 v[0:3], v10 offset:224
	ds_load_b128 v[4:7], v10 offset:240
	s_wait_dscnt 0x1
	v_add_f64_e32 v[0:1], v[0:1], v[8:9]
	v_add_f64_e32 v[0:1], v[2:3], v[0:1]
	s_wait_dscnt 0x0
	s_delay_alu instid0(VALU_DEP_1) | instskip(NEXT) | instid1(VALU_DEP_1)
	v_add_f64_e32 v[0:1], v[4:5], v[0:1]
	v_add_f64_e32 v[8:9], v[6:7], v[0:1]
	ds_load_b128 v[0:3], v10 offset:256
	ds_load_b128 v[4:7], v10 offset:272
	s_wait_dscnt 0x1
	v_add_f64_e32 v[0:1], v[0:1], v[8:9]
	s_delay_alu instid0(VALU_DEP_1) | instskip(SKIP_1) | instid1(VALU_DEP_1)
	v_add_f64_e32 v[0:1], v[2:3], v[0:1]
	s_wait_dscnt 0x0
	v_add_f64_e32 v[0:1], v[4:5], v[0:1]
	s_delay_alu instid0(VALU_DEP_1) | instskip(SKIP_4) | instid1(VALU_DEP_1)
	v_add_f64_e32 v[8:9], v[6:7], v[0:1]
	ds_load_b128 v[0:3], v10 offset:288
	ds_load_b128 v[4:7], v10 offset:304
	s_wait_dscnt 0x1
	v_add_f64_e32 v[0:1], v[0:1], v[8:9]
	v_add_f64_e32 v[0:1], v[2:3], v[0:1]
	s_wait_dscnt 0x0
	s_delay_alu instid0(VALU_DEP_1) | instskip(NEXT) | instid1(VALU_DEP_1)
	v_add_f64_e32 v[0:1], v[4:5], v[0:1]
	v_add_f64_e32 v[8:9], v[6:7], v[0:1]
	ds_load_b128 v[0:3], v10 offset:320
	ds_load_b128 v[4:7], v10 offset:336
	s_wait_dscnt 0x1
	v_add_f64_e32 v[0:1], v[0:1], v[8:9]
	s_delay_alu instid0(VALU_DEP_1) | instskip(SKIP_1) | instid1(VALU_DEP_1)
	v_add_f64_e32 v[0:1], v[2:3], v[0:1]
	s_wait_dscnt 0x0
	v_add_f64_e32 v[0:1], v[4:5], v[0:1]
	s_delay_alu instid0(VALU_DEP_1) | instskip(SKIP_4) | instid1(VALU_DEP_1)
	v_add_f64_e32 v[8:9], v[6:7], v[0:1]
	ds_load_b128 v[0:3], v10 offset:352
	ds_load_b128 v[4:7], v10 offset:368
	s_wait_dscnt 0x1
	v_add_f64_e32 v[0:1], v[0:1], v[8:9]
	v_add_f64_e32 v[0:1], v[2:3], v[0:1]
	s_wait_dscnt 0x0
	s_delay_alu instid0(VALU_DEP_1) | instskip(NEXT) | instid1(VALU_DEP_1)
	v_add_f64_e32 v[0:1], v[4:5], v[0:1]
	v_add_f64_e32 v[8:9], v[6:7], v[0:1]
	ds_load_b128 v[0:3], v10 offset:384
	ds_load_b128 v[4:7], v10 offset:400
	s_wait_dscnt 0x1
	v_add_f64_e32 v[0:1], v[0:1], v[8:9]
	s_delay_alu instid0(VALU_DEP_1) | instskip(SKIP_1) | instid1(VALU_DEP_1)
	v_add_f64_e32 v[0:1], v[2:3], v[0:1]
	s_wait_dscnt 0x0
	v_add_f64_e32 v[0:1], v[4:5], v[0:1]
	s_delay_alu instid0(VALU_DEP_1) | instskip(SKIP_4) | instid1(VALU_DEP_1)
	v_add_f64_e32 v[8:9], v[6:7], v[0:1]
	ds_load_b128 v[0:3], v10 offset:416
	ds_load_b128 v[4:7], v10 offset:432
	s_wait_dscnt 0x1
	v_add_f64_e32 v[0:1], v[0:1], v[8:9]
	v_add_f64_e32 v[0:1], v[2:3], v[0:1]
	s_wait_dscnt 0x0
	s_delay_alu instid0(VALU_DEP_1) | instskip(NEXT) | instid1(VALU_DEP_1)
	v_add_f64_e32 v[0:1], v[4:5], v[0:1]
	v_add_f64_e32 v[8:9], v[6:7], v[0:1]
	ds_load_b128 v[0:3], v10 offset:448
	ds_load_b128 v[4:7], v10 offset:464
	s_wait_dscnt 0x1
	v_add_f64_e32 v[0:1], v[0:1], v[8:9]
	s_delay_alu instid0(VALU_DEP_1) | instskip(SKIP_1) | instid1(VALU_DEP_1)
	v_add_f64_e32 v[0:1], v[2:3], v[0:1]
	s_wait_dscnt 0x0
	v_add_f64_e32 v[0:1], v[4:5], v[0:1]
	s_delay_alu instid0(VALU_DEP_1) | instskip(SKIP_4) | instid1(VALU_DEP_1)
	v_add_f64_e32 v[8:9], v[6:7], v[0:1]
	ds_load_b128 v[0:3], v10 offset:480
	ds_load_b128 v[4:7], v10 offset:496
	s_wait_dscnt 0x1
	v_add_f64_e32 v[0:1], v[0:1], v[8:9]
	v_add_f64_e32 v[0:1], v[2:3], v[0:1]
	s_wait_dscnt 0x0
	s_delay_alu instid0(VALU_DEP_1) | instskip(NEXT) | instid1(VALU_DEP_1)
	v_add_f64_e32 v[0:1], v[4:5], v[0:1]
	v_add_f64_e32 v[0:1], v[6:7], v[0:1]
	global_store_b64 v42, v[0:1], s[0:1] scale_offset
.LBB1_11:
	s_sendmsg sendmsg(MSG_DEALLOC_VGPRS)
	s_endpgm
	.section	.rodata,"a",@progbits
	.p2align	6, 0x0
	.amdhsa_kernel _Z16cuda_mat_J_PI_dpPKdPKiiS0_PdS0_
		.amdhsa_group_segment_fixed_size 512
		.amdhsa_private_segment_fixed_size 1056
		.amdhsa_kernarg_size 304
		.amdhsa_user_sgpr_count 8
		.amdhsa_user_sgpr_dispatch_ptr 1
		.amdhsa_user_sgpr_queue_ptr 1
		.amdhsa_user_sgpr_kernarg_segment_ptr 1
		.amdhsa_user_sgpr_dispatch_id 1
		.amdhsa_user_sgpr_kernarg_preload_length 0
		.amdhsa_user_sgpr_kernarg_preload_offset 0
		.amdhsa_user_sgpr_private_segment_size 0
		.amdhsa_wavefront_size32 1
		.amdhsa_uses_dynamic_stack 1
		.amdhsa_enable_private_segment 1
		.amdhsa_system_sgpr_workgroup_id_x 1
		.amdhsa_system_sgpr_workgroup_id_y 1
		.amdhsa_system_sgpr_workgroup_id_z 1
		.amdhsa_system_sgpr_workgroup_info 0
		.amdhsa_system_vgpr_workitem_id 2
		.amdhsa_next_free_vgpr max(totalnumvgprs(_Z16cuda_mat_J_PI_dpPKdPKiiS0_PdS0_.num_agpr, _Z16cuda_mat_J_PI_dpPKdPKiiS0_PdS0_.num_vgpr), 1, 0)
		.amdhsa_next_free_sgpr max(_Z16cuda_mat_J_PI_dpPKdPKiiS0_PdS0_.numbered_sgpr+2, 1, 0)-2
		.amdhsa_named_barrier_count (((((alignto(_Z16cuda_mat_J_PI_dpPKdPKiiS0_PdS0_.num_named_barrier, 4)/4)<<14)&~4080)|320)&114688)>>14
		.amdhsa_reserve_vcc 1
		.amdhsa_float_round_mode_32 0
		.amdhsa_float_round_mode_16_64 0
		.amdhsa_float_denorm_mode_32 3
		.amdhsa_float_denorm_mode_16_64 3
		.amdhsa_fp16_overflow 0
		.amdhsa_memory_ordered 1
		.amdhsa_forward_progress 1
		.amdhsa_inst_pref_size 20
		.amdhsa_round_robin_scheduling 0
		.amdhsa_exception_fp_ieee_invalid_op 0
		.amdhsa_exception_fp_denorm_src 0
		.amdhsa_exception_fp_ieee_div_zero 0
		.amdhsa_exception_fp_ieee_overflow 0
		.amdhsa_exception_fp_ieee_underflow 0
		.amdhsa_exception_fp_ieee_inexact 0
		.amdhsa_exception_int_div_zero 0
	.end_amdhsa_kernel
	.text
.Lfunc_end1:
	.size	_Z16cuda_mat_J_PI_dpPKdPKiiS0_PdS0_, .Lfunc_end1-_Z16cuda_mat_J_PI_dpPKdPKiiS0_PdS0_
                                        ; -- End function
	.set _Z16cuda_mat_J_PI_dpPKdPKiiS0_PdS0_.num_vgpr, max(63, amdgpu.max_num_vgpr)
	.set _Z16cuda_mat_J_PI_dpPKdPKiiS0_PdS0_.num_agpr, max(0, amdgpu.max_num_agpr)
	.set _Z16cuda_mat_J_PI_dpPKdPKiiS0_PdS0_.numbered_sgpr, max(106, amdgpu.max_num_sgpr)
	.set _Z16cuda_mat_J_PI_dpPKdPKiiS0_PdS0_.num_named_barrier, max(0, amdgpu.max_num_named_barrier)
	.set _Z16cuda_mat_J_PI_dpPKdPKiiS0_PdS0_.private_seg_size, 64+max(.L_Z15cuda_rys_pbf_dpPKdS0_S0_S0_.private_seg_size)
	.set _Z16cuda_mat_J_PI_dpPKdPKiiS0_PdS0_.uses_vcc, 1
	.set _Z16cuda_mat_J_PI_dpPKdPKiiS0_PdS0_.uses_flat_scratch, 1
	.set _Z16cuda_mat_J_PI_dpPKdPKiiS0_PdS0_.has_dyn_sized_stack, 1
	.set _Z16cuda_mat_J_PI_dpPKdPKiiS0_PdS0_.has_recursion, 1
	.set _Z16cuda_mat_J_PI_dpPKdPKiiS0_PdS0_.has_indirect_call, 1
	.section	.AMDGPU.csdata,"",@progbits
; Kernel info:
; codeLenInByte = 2528
; TotalNumSgprs: _Z16cuda_mat_J_PI_dpPKdPKiiS0_PdS0_.numbered_sgpr+2
; NumVgprs: _Z16cuda_mat_J_PI_dpPKdPKiiS0_PdS0_.num_vgpr
; ScratchSize: 1056
; MemoryBound: 0
; FloatMode: 240
; IeeeMode: 1
; LDSByteSize: 512 bytes/workgroup (compile time only)
; SGPRBlocks: 0
; VGPRBlocks: (alignto(max(max(totalnumvgprs(_Z16cuda_mat_J_PI_dpPKdPKiiS0_PdS0_.num_agpr, _Z16cuda_mat_J_PI_dpPKdPKiiS0_PdS0_.num_vgpr), 1, 0), 1), 16)/16)-1
; NumSGPRsForWavesPerEU: max(_Z16cuda_mat_J_PI_dpPKdPKiiS0_PdS0_.numbered_sgpr+2, 1, 0)
; NumVGPRsForWavesPerEU: max(totalnumvgprs(_Z16cuda_mat_J_PI_dpPKdPKiiS0_PdS0_.num_agpr, _Z16cuda_mat_J_PI_dpPKdPKiiS0_PdS0_.num_vgpr), 1, 0)
; NamedBarCnt: alignto(_Z16cuda_mat_J_PI_dpPKdPKiiS0_PdS0_.num_named_barrier, 4)/4
; Occupancy: occupancy(16, 16, 1024, 11, 16, max(_Z16cuda_mat_J_PI_dpPKdPKiiS0_PdS0_.numbered_sgpr+extrasgprs(_Z16cuda_mat_J_PI_dpPKdPKiiS0_PdS0_.uses_vcc, _Z16cuda_mat_J_PI_dpPKdPKiiS0_PdS0_.uses_flat_scratch, 1), 1, 0), max(totalnumvgprs(_Z16cuda_mat_J_PI_dpPKdPKiiS0_PdS0_.num_agpr, _Z16cuda_mat_J_PI_dpPKdPKiiS0_PdS0_.num_vgpr), 1, 0))
; WaveLimiterHint : 1
; COMPUTE_PGM_RSRC2:SCRATCH_EN: 1
; COMPUTE_PGM_RSRC2:USER_SGPR: 8
; COMPUTE_PGM_RSRC2:TRAP_HANDLER: 0
; COMPUTE_PGM_RSRC2:TGID_X_EN: 1
; COMPUTE_PGM_RSRC2:TGID_Y_EN: 1
; COMPUTE_PGM_RSRC2:TGID_Z_EN: 1
; COMPUTE_PGM_RSRC2:TIDIG_COMP_CNT: 2
	.text
	.protected	_Z16cuda_mat_K_PI_dpPKdPKiiS0_PdS0_ ; -- Begin function _Z16cuda_mat_K_PI_dpPKdPKiiS0_PdS0_
	.globl	_Z16cuda_mat_K_PI_dpPKdPKiiS0_PdS0_
	.p2align	8
	.type	_Z16cuda_mat_K_PI_dpPKdPKiiS0_PdS0_,@function
_Z16cuda_mat_K_PI_dpPKdPKiiS0_PdS0_:    ; @_Z16cuda_mat_K_PI_dpPKdPKiiS0_PdS0_
; %bb.0:
	s_load_b32 s52, s[4:5], 0x10
	s_mov_b64 s[34:35], s[4:5]
	s_mov_b64 s[50:51], s[0:1]
	s_bfe_u32 s1, ttmp6, 0x40010
	s_wait_xcnt 0x0
	s_bfe_u32 s4, ttmp6, 0x4000c
	s_and_b32 s0, ttmp7, 0xffff
	s_add_co_i32 s1, s1, 1
	s_add_co_i32 s4, s4, 1
	s_mov_b64 s[48:49], s[2:3]
	s_bfe_u32 s2, ttmp6, 0x40004
	s_and_b32 s3, ttmp6, 15
	s_mul_i32 s1, s0, s1
	s_mul_i32 s4, ttmp9, s4
	s_getreg_b32 s5, hwreg(HW_REG_IB_STS2, 6, 4)
	s_add_co_i32 s2, s2, s1
	s_add_co_i32 s3, s3, s4
	s_cmp_eq_u32 s5, 0
	s_mov_b32 s32, 64
	s_cselect_b32 s36, ttmp9, s3
	s_cselect_b32 s33, s0, s2
	s_wait_kmcnt 0x0
	s_cmp_ge_i32 s36, s52
	s_cselect_b32 s0, -1, 0
	s_cmp_gt_i32 s33, s36
	s_cselect_b32 s1, -1, 0
	s_delay_alu instid0(SALU_CYCLE_1) | instskip(NEXT) | instid1(SALU_CYCLE_1)
	s_or_b32 s0, s1, s0
	s_and_b32 vcc_lo, exec_lo, s0
	s_cbranch_vccnz .LBB2_11
; %bb.1:
	s_load_b64 s[0:1], s[34:35], 0x20
                                        ; implicit-def: $vgpr62 : SGPR spill to VGPR lane
	v_dual_mov_b32 v43, v0 :: v_dual_mov_b32 v31, v0
	v_dual_mov_b32 v0, s36 :: v_dual_mov_b32 v1, s33
	s_mov_b64 s[38:39], s[6:7]
	s_add_nc_u64 s[54:55], s[34:35], 48
	s_get_pc_i64 s[64:65]
	s_add_nc_u64 s[64:65], s[64:65], _Z16cuda_ij2intindexii@rel64+4
	s_mov_b64 s[4:5], s[50:51]
	s_mov_b64 s[6:7], s[48:49]
	;; [unrolled: 1-line block ×4, first 2 shown]
	s_wait_kmcnt 0x0
	v_writelane_b32 v62, s0, 0
	v_writelane_b32 v62, s1, 1
	s_swap_pc_i64 s[30:31], s[64:65]
	v_bfe_u32 v47, v43, 10, 10
	v_mov_b32_e32 v42, v0
	v_and_b32_e32 v56, 0x3ff, v43
	v_mov_b64_e32 v[0:1], 0
	s_delay_alu instid0(VALU_DEP_4) | instskip(NEXT) | instid1(VALU_DEP_3)
	v_lshlrev_b32_e32 v57, 3, v47
	v_cmp_gt_i32_e32 vcc_lo, s52, v56
	s_delay_alu instid0(VALU_DEP_2) | instskip(SKIP_2) | instid1(SALU_CYCLE_1)
	v_lshl_add_u32 v58, v56, 6, v57
	ds_store_b64 v58, v[0:1]
	s_mov_b32 s0, exec_lo
	v_writelane_b32 v62, s0, 2
	s_and_b32 s0, s0, vcc_lo
	s_delay_alu instid0(SALU_CYCLE_1)
	s_mov_b32 exec_lo, s0
	s_cbranch_execz .LBB2_9
; %bb.2:
	s_clause 0x1
	s_load_b128 s[4:7], s[34:35], 0x0
	s_load_b64 s[2:3], s[34:35], 0x18
	s_ashr_i32 s37, s36, 31
	s_get_pc_i64 s[8:9]
	s_add_nc_u64 s[8:9], s[8:9], _Z15cuda_rys_pbf_dpPKdS0_S0_S0_@rel64+4
	s_lshl_b64 s[0:1], s[36:37], 2
	v_dual_mov_b32 v41, 0 :: v_dual_lshlrev_b32 v40, 2, v47
	v_mov_b32_e32 v59, v56
                                        ; kill: killed $sgpr34_sgpr35
	s_wait_kmcnt 0x0
	s_add_nc_u64 s[0:1], s[6:7], s[0:1]
	v_writelane_b32 v62, s2, 3
                                        ; kill: killed $sgpr0_sgpr1
	v_add_nc_u64_e32 v[0:1], s[6:7], v[40:41]
	v_writelane_b32 v62, s3, 4
	s_load_b64 s[2:3], s[34:35], 0x28
	scratch_store_b64 off, v[0:1], off offset:40 ; 8-byte Folded Spill
	s_wait_kmcnt 0x0
	v_writelane_b32 v62, s2, 5
	v_writelane_b32 v62, s3, 6
	s_load_b32 s2, s[0:1], 0x0
	v_cmp_gt_u32_e64 s3, s52, v47
	s_wait_xcnt 0x0
	s_lshl_b32 s0, s36, 3
	s_delay_alu instid0(SALU_CYCLE_1) | instskip(NEXT) | instid1(SALU_CYCLE_1)
	s_ashr_i32 s1, s0, 31
	s_lshl_b64 s[0:1], s[0:1], 3
	s_delay_alu instid0(SALU_CYCLE_1)
	s_add_nc_u64 s[0:1], s[4:5], s[0:1]
	s_wait_kmcnt 0x0
	v_writelane_b32 v62, s2, 7
	s_load_b32 s2, s[6:7], s33 offset:0x0 scale_offset
	s_wait_kmcnt 0x0
	v_writelane_b32 v62, s2, 8
	s_lshl_b32 s2, s33, 6
	v_writelane_b32 v62, s3, 9
	s_mov_b32 s3, 0
	v_writelane_b32 v62, s8, 10
	v_writelane_b32 v62, s9, 11
	;; [unrolled: 1-line block ×5, first 2 shown]
	s_add_nc_u64 s[0:1], s[4:5], s[2:3]
	v_writelane_b32 v62, s5, 15
	v_writelane_b32 v62, s6, 16
	;; [unrolled: 1-line block ×16, first 2 shown]
	s_branch .LBB2_4
.LBB2_3:                                ;   in Loop: Header=BB2_4 Depth=1
	s_delay_alu instid0(VALU_DEP_1) | instskip(SKIP_4) | instid1(VALU_DEP_3)
	v_readlane_b32 s0, v61, 1
	s_or_b32 exec_lo, exec_lo, s0
	v_add_nc_u32_e32 v59, 8, v59
	v_readlane_b32 s2, v62, 31
	v_readlane_b32 s3, v61, 0
	v_cmp_le_i32_e32 vcc_lo, s52, v59
	s_or_b32 s3, vcc_lo, s3
	s_delay_alu instid0(SALU_CYCLE_1)
	s_and_not1_b32 exec_lo, exec_lo, s3
	s_cbranch_execz .LBB2_9
.LBB2_4:                                ; =>This Loop Header: Depth=1
                                        ;     Child Loop BB2_7 Depth 2
	v_writelane_b32 v62, s2, 31
                                        ; implicit-def: $vgpr61 : SGPR spill to VGPR lane
	s_mov_b64 s[4:5], s[50:51]
	v_writelane_b32 v61, s3, 0
	s_mov_b64 s[6:7], s[48:49]
	s_mov_b64 s[8:9], s[54:55]
	v_readlane_b32 s0, v62, 14
	v_readlane_b32 s2, v62, 16
	;; [unrolled: 1-line block ×4, first 2 shown]
	v_mov_b32_e32 v31, v43
	s_mov_b64 s[10:11], s[38:39]
	v_readlane_b32 s1, v62, 15
	global_load_b32 v44, v59, s[2:3] scale_offset
	s_wait_loadcnt 0x0
	v_dual_mov_b32 v0, s0 :: v_dual_mov_b32 v1, v44
	s_swap_pc_i64 s[30:31], s[64:65]
	s_wait_xcnt 0x0
	s_mov_b32 s1, exec_lo
	v_readlane_b32 s0, v62, 9
	v_writelane_b32 v61, s1, 1
	s_and_b32 s0, s1, s0
	s_delay_alu instid0(SALU_CYCLE_1)
	s_mov_b32 exec_lo, s0
	s_cbranch_execz .LBB2_3
; %bb.5:                                ;   in Loop: Header=BB2_4 Depth=1
	scratch_load_b64 v[2:3], off, off offset:40 ; 8-byte Folded Reload
	v_readlane_b32 s0, v62, 14
	v_dual_lshlrev_b32 v40, 3, v59 :: v_dual_ashrrev_i32 v1, 31, v0
	v_readlane_b32 s1, v62, 15
	v_readlane_b32 s2, v62, 16
	v_mov_b32_e32 v60, v47
	v_readlane_b32 s3, v62, 17
	s_delay_alu instid0(VALU_DEP_4) | instskip(SKIP_3) | instid1(VALU_DEP_2)
	v_lshl_add_u64 v[4:5], v[40:41], 3, s[0:1]
	v_readlane_b32 s0, v62, 5
	v_readlane_b32 s1, v62, 6
	v_mov_b32_e32 v40, v57
	v_lshl_add_u64 v[0:1], v[0:1], 3, s[0:1]
	s_mov_b32 s0, 0
	s_clause 0x1
	scratch_store_b64 off, v[4:5], off offset:32
	scratch_store_b64 off, v[0:1], off offset:12
	s_wait_xcnt 0x0
	s_or_saveexec_b32 s105, -1
	scratch_store_b32 off, v62, off offset:28 ; 4-byte Folded Spill
	s_wait_xcnt 0x0
	s_mov_b32 exec_lo, s105
	s_branch .LBB2_7
.LBB2_6:                                ;   in Loop: Header=BB2_7 Depth=2
	s_wait_xcnt 0x0
	s_or_saveexec_b32 s105, -1
	scratch_load_b32 v61, off, off          ; 4-byte Folded Reload
	s_wait_xcnt 0x0
	s_mov_b32 exec_lo, s105
	s_wait_loadcnt 0x0
	v_readlane_b32 s0, v61, 3
	s_or_b32 exec_lo, exec_lo, s0
	scratch_load_b64 v[2:3], off, off offset:4 th:TH_LOAD_LU ; 8-byte Folded Reload
	v_add_nc_u32_e32 v60, 8, v60
	v_readlane_b32 s0, v61, 2
	v_add_nc_u32_e32 v40, 64, v40
	s_delay_alu instid0(VALU_DEP_3)
	v_cmp_le_i32_e32 vcc_lo, s52, v60
	s_or_b32 s0, vcc_lo, s0
	s_wait_loadcnt 0x0
	v_add_nc_u64_e32 v[2:3], 32, v[2:3]
	s_wait_xcnt 0x0
	s_and_not1_b32 exec_lo, exec_lo, s0
	s_cbranch_execz .LBB2_3
.LBB2_7:                                ;   Parent Loop BB2_4 Depth=1
                                        ; =>  This Inner Loop Header: Depth=2
	s_wait_loadcnt 0x0
	global_load_b32 v45, v[2:3], off
	v_writelane_b32 v61, s0, 2
	v_readlane_b32 s0, v62, 8
	v_mov_b32_e32 v31, v43
	s_mov_b64 s[4:5], s[50:51]
	s_mov_b64 s[6:7], s[48:49]
	;; [unrolled: 1-line block ×3, first 2 shown]
	v_mov_b32_e32 v0, s0
	s_mov_b64 s[10:11], s[38:39]
	scratch_store_b64 off, v[2:3], off offset:4 ; 8-byte Folded Spill
	s_wait_loadcnt 0x0
	v_mov_b32_e32 v1, v45
	s_swap_pc_i64 s[30:31], s[64:65]
	v_dual_mov_b32 v46, v0 :: v_dual_mov_b32 v31, v43
	v_dual_mov_b32 v0, v44 :: v_dual_mov_b32 v1, v45
	s_mov_b64 s[4:5], s[50:51]
	s_mov_b64 s[6:7], s[48:49]
	;; [unrolled: 1-line block ×4, first 2 shown]
	s_swap_pc_i64 s[30:31], s[64:65]
	scratch_load_b64 v[2:3], off, off offset:12 ; 8-byte Folded Reload
	v_readlane_b32 s0, v62, 5
	v_readlane_b32 s1, v62, 6
                                        ; kill: killed $vgpr0
                                        ; kill: killed $vgpr46
	global_load_b64 v[4:5], v46, s[0:1] scale_offset
	s_wait_xcnt 0x0
	v_readlane_b32 s0, v62, 3
	v_readlane_b32 s1, v62, 4
	global_load_b64 v[6:7], v0, s[0:1] scale_offset
	s_wait_xcnt 0x0
	s_mov_b64 s[0:1], 0x3c9cd2b297d889bc
	s_wait_loadcnt 0x2
	global_load_b64 v[2:3], v[2:3], off
	s_wait_loadcnt 0x0
	v_mul_f64_e32 v[0:1], v[2:3], v[4:5]
	s_delay_alu instid0(VALU_DEP_1) | instskip(NEXT) | instid1(VALU_DEP_1)
	v_mul_f64_e32 v[0:1], v[0:1], v[6:7]
	v_cmp_nlt_f64_e64 s0, |v[0:1]|, s[0:1]
	s_wait_xcnt 0x0
	s_mov_b32 s1, exec_lo
	s_delay_alu instid0(SALU_CYCLE_1)
	v_writelane_b32 v61, s1, 3
	s_or_saveexec_b32 s105, -1
	scratch_store_b32 off, v61, off         ; 4-byte Folded Spill
	s_wait_xcnt 0x0
	s_mov_b32 exec_lo, s105
	s_and_b32 s0, s1, s0
	s_delay_alu instid0(SALU_CYCLE_1)
	s_mov_b32 exec_lo, s0
	s_cbranch_execz .LBB2_6
; %bb.8:                                ;   in Loop: Header=BB2_7 Depth=2
	scratch_load_b64 v[2:3], off, off offset:32 ; 8-byte Folded Reload
	v_readlane_b32 s0, v62, 14
	v_readlane_b32 s1, v62, 15
	scratch_store_b64 off, v[6:7], off offset:20 ; 8-byte Folded Spill
	s_mov_b64 s[4:5], s[50:51]
	s_mov_b64 s[6:7], s[48:49]
	;; [unrolled: 1-line block ×3, first 2 shown]
	s_wait_xcnt 0x0
	v_lshl_add_u64 v[6:7], v[40:41], 3, s[0:1]
	v_readlane_b32 s0, v62, 12
	v_readlane_b32 s1, v62, 13
	v_mov_b32_e32 v31, v43
	s_mov_b64 s[10:11], s[38:39]
	v_readlane_b32 s2, v62, 16
	v_dual_mov_b32 v0, s0 :: v_dual_mov_b32 v1, s1
	v_readlane_b32 s0, v62, 18
	v_readlane_b32 s1, v62, 19
	;; [unrolled: 1-line block ×3, first 2 shown]
	s_delay_alu instid0(VALU_DEP_2)
	v_dual_mov_b32 v4, s0 :: v_dual_mov_b32 v5, s1
	v_readlane_b32 s0, v62, 10
	v_readlane_b32 s1, v62, 11
	s_swap_pc_i64 s[30:31], s[0:1]
	s_or_saveexec_b32 s105, -1
	scratch_load_b32 v62, off, off offset:28 ; 4-byte Folded Reload
	s_wait_xcnt 0x0
	s_mov_b32 exec_lo, s105
	scratch_load_b64 v[4:5], off, off offset:20 th:TH_LOAD_LU ; 8-byte Folded Reload
	ds_load_b64 v[2:3], v58
	s_wait_loadcnt 0x1
	v_readlane_b32 s64, v62, 29
	v_readlane_b32 s54, v62, 27
	;; [unrolled: 1-line block ×11, first 2 shown]
	s_wait_loadcnt_dscnt 0x0
	v_fmac_f64_e32 v[2:3], v[4:5], v[0:1]
	ds_store_b64 v58, v[2:3]
	s_branch .LBB2_6
.LBB2_9:
	s_delay_alu instid0(VALU_DEP_1)
	v_readlane_b32 s0, v62, 2
	s_or_b32 exec_lo, exec_lo, s0
	v_or_b32_e32 v0, v56, v47
	s_wait_storecnt_dscnt 0x0
	s_barrier_signal -1
	s_barrier_wait -1
	s_mov_b32 s0, exec_lo
	v_cmpx_eq_u32_e32 0, v0
	s_cbranch_execz .LBB2_11
; %bb.10:
	v_mov_b32_e32 v10, 0
	v_readlane_b32 s0, v62, 0
	v_readlane_b32 s1, v62, 1
	ds_load_b128 v[0:3], v10
	ds_load_b128 v[4:7], v10 offset:16
	s_wait_dscnt 0x1
	v_add_f64_e32 v[0:1], 0, v[0:1]
	s_delay_alu instid0(VALU_DEP_1) | instskip(SKIP_1) | instid1(VALU_DEP_1)
	v_add_f64_e32 v[0:1], v[2:3], v[0:1]
	s_wait_dscnt 0x0
	v_add_f64_e32 v[0:1], v[4:5], v[0:1]
	s_delay_alu instid0(VALU_DEP_1) | instskip(SKIP_4) | instid1(VALU_DEP_1)
	v_add_f64_e32 v[8:9], v[6:7], v[0:1]
	ds_load_b128 v[0:3], v10 offset:32
	ds_load_b128 v[4:7], v10 offset:48
	s_wait_dscnt 0x1
	v_add_f64_e32 v[0:1], v[0:1], v[8:9]
	v_add_f64_e32 v[0:1], v[2:3], v[0:1]
	s_wait_dscnt 0x0
	s_delay_alu instid0(VALU_DEP_1) | instskip(NEXT) | instid1(VALU_DEP_1)
	v_add_f64_e32 v[0:1], v[4:5], v[0:1]
	v_add_f64_e32 v[8:9], v[6:7], v[0:1]
	ds_load_b128 v[0:3], v10 offset:64
	ds_load_b128 v[4:7], v10 offset:80
	s_wait_dscnt 0x1
	v_add_f64_e32 v[0:1], v[0:1], v[8:9]
	s_delay_alu instid0(VALU_DEP_1) | instskip(SKIP_1) | instid1(VALU_DEP_1)
	v_add_f64_e32 v[0:1], v[2:3], v[0:1]
	s_wait_dscnt 0x0
	v_add_f64_e32 v[0:1], v[4:5], v[0:1]
	s_delay_alu instid0(VALU_DEP_1) | instskip(SKIP_4) | instid1(VALU_DEP_1)
	v_add_f64_e32 v[8:9], v[6:7], v[0:1]
	ds_load_b128 v[0:3], v10 offset:96
	ds_load_b128 v[4:7], v10 offset:112
	s_wait_dscnt 0x1
	v_add_f64_e32 v[0:1], v[0:1], v[8:9]
	v_add_f64_e32 v[0:1], v[2:3], v[0:1]
	s_wait_dscnt 0x0
	s_delay_alu instid0(VALU_DEP_1) | instskip(NEXT) | instid1(VALU_DEP_1)
	v_add_f64_e32 v[0:1], v[4:5], v[0:1]
	v_add_f64_e32 v[8:9], v[6:7], v[0:1]
	ds_load_b128 v[0:3], v10 offset:128
	;; [unrolled: 19-line block ×7, first 2 shown]
	ds_load_b128 v[4:7], v10 offset:464
	s_wait_dscnt 0x1
	v_add_f64_e32 v[0:1], v[0:1], v[8:9]
	s_delay_alu instid0(VALU_DEP_1) | instskip(SKIP_1) | instid1(VALU_DEP_1)
	v_add_f64_e32 v[0:1], v[2:3], v[0:1]
	s_wait_dscnt 0x0
	v_add_f64_e32 v[0:1], v[4:5], v[0:1]
	s_delay_alu instid0(VALU_DEP_1) | instskip(SKIP_4) | instid1(VALU_DEP_1)
	v_add_f64_e32 v[8:9], v[6:7], v[0:1]
	ds_load_b128 v[0:3], v10 offset:480
	ds_load_b128 v[4:7], v10 offset:496
	s_wait_dscnt 0x1
	v_add_f64_e32 v[0:1], v[0:1], v[8:9]
	v_add_f64_e32 v[0:1], v[2:3], v[0:1]
	s_wait_dscnt 0x0
	s_delay_alu instid0(VALU_DEP_1) | instskip(NEXT) | instid1(VALU_DEP_1)
	v_add_f64_e32 v[0:1], v[4:5], v[0:1]
	v_add_f64_e32 v[0:1], v[6:7], v[0:1]
	global_store_b64 v42, v[0:1], s[0:1] scale_offset
.LBB2_11:
	s_sendmsg sendmsg(MSG_DEALLOC_VGPRS)
	s_endpgm
	.section	.rodata,"a",@progbits
	.p2align	6, 0x0
	.amdhsa_kernel _Z16cuda_mat_K_PI_dpPKdPKiiS0_PdS0_
		.amdhsa_group_segment_fixed_size 512
		.amdhsa_private_segment_fixed_size 1056
		.amdhsa_kernarg_size 304
		.amdhsa_user_sgpr_count 8
		.amdhsa_user_sgpr_dispatch_ptr 1
		.amdhsa_user_sgpr_queue_ptr 1
		.amdhsa_user_sgpr_kernarg_segment_ptr 1
		.amdhsa_user_sgpr_dispatch_id 1
		.amdhsa_user_sgpr_kernarg_preload_length 0
		.amdhsa_user_sgpr_kernarg_preload_offset 0
		.amdhsa_user_sgpr_private_segment_size 0
		.amdhsa_wavefront_size32 1
		.amdhsa_uses_dynamic_stack 1
		.amdhsa_enable_private_segment 1
		.amdhsa_system_sgpr_workgroup_id_x 1
		.amdhsa_system_sgpr_workgroup_id_y 1
		.amdhsa_system_sgpr_workgroup_id_z 1
		.amdhsa_system_sgpr_workgroup_info 0
		.amdhsa_system_vgpr_workitem_id 2
		.amdhsa_next_free_vgpr max(totalnumvgprs(_Z16cuda_mat_K_PI_dpPKdPKiiS0_PdS0_.num_agpr, _Z16cuda_mat_K_PI_dpPKdPKiiS0_PdS0_.num_vgpr), 1, 0)
		.amdhsa_next_free_sgpr max(_Z16cuda_mat_K_PI_dpPKdPKiiS0_PdS0_.numbered_sgpr+2, 1, 0)-2
		.amdhsa_named_barrier_count (((((alignto(_Z16cuda_mat_K_PI_dpPKdPKiiS0_PdS0_.num_named_barrier, 4)/4)<<14)&~4080)|336)&114688)>>14
		.amdhsa_reserve_vcc 1
		.amdhsa_float_round_mode_32 0
		.amdhsa_float_round_mode_16_64 0
		.amdhsa_float_denorm_mode_32 3
		.amdhsa_float_denorm_mode_16_64 3
		.amdhsa_fp16_overflow 0
		.amdhsa_memory_ordered 1
		.amdhsa_forward_progress 1
		.amdhsa_inst_pref_size 21
		.amdhsa_round_robin_scheduling 0
		.amdhsa_exception_fp_ieee_invalid_op 0
		.amdhsa_exception_fp_denorm_src 0
		.amdhsa_exception_fp_ieee_div_zero 0
		.amdhsa_exception_fp_ieee_overflow 0
		.amdhsa_exception_fp_ieee_underflow 0
		.amdhsa_exception_fp_ieee_inexact 0
		.amdhsa_exception_int_div_zero 0
	.end_amdhsa_kernel
	.text
.Lfunc_end2:
	.size	_Z16cuda_mat_K_PI_dpPKdPKiiS0_PdS0_, .Lfunc_end2-_Z16cuda_mat_K_PI_dpPKdPKiiS0_PdS0_
                                        ; -- End function
	.set _Z16cuda_mat_K_PI_dpPKdPKiiS0_PdS0_.num_vgpr, max(63, amdgpu.max_num_vgpr)
	.set _Z16cuda_mat_K_PI_dpPKdPKiiS0_PdS0_.num_agpr, max(0, amdgpu.max_num_agpr)
	.set _Z16cuda_mat_K_PI_dpPKdPKiiS0_PdS0_.numbered_sgpr, max(106, amdgpu.max_num_sgpr)
	.set _Z16cuda_mat_K_PI_dpPKdPKiiS0_PdS0_.num_named_barrier, max(0, amdgpu.max_num_named_barrier)
	.set _Z16cuda_mat_K_PI_dpPKdPKiiS0_PdS0_.private_seg_size, 64+max(.L_Z15cuda_rys_pbf_dpPKdS0_S0_S0_.private_seg_size)
	.set _Z16cuda_mat_K_PI_dpPKdPKiiS0_PdS0_.uses_vcc, 1
	.set _Z16cuda_mat_K_PI_dpPKdPKiiS0_PdS0_.uses_flat_scratch, 1
	.set _Z16cuda_mat_K_PI_dpPKdPKiiS0_PdS0_.has_dyn_sized_stack, 1
	.set _Z16cuda_mat_K_PI_dpPKdPKiiS0_PdS0_.has_recursion, 1
	.set _Z16cuda_mat_K_PI_dpPKdPKiiS0_PdS0_.has_indirect_call, 1
	.section	.AMDGPU.csdata,"",@progbits
; Kernel info:
; codeLenInByte = 2616
; TotalNumSgprs: _Z16cuda_mat_K_PI_dpPKdPKiiS0_PdS0_.numbered_sgpr+2
; NumVgprs: _Z16cuda_mat_K_PI_dpPKdPKiiS0_PdS0_.num_vgpr
; ScratchSize: 1056
; MemoryBound: 0
; FloatMode: 240
; IeeeMode: 1
; LDSByteSize: 512 bytes/workgroup (compile time only)
; SGPRBlocks: 0
; VGPRBlocks: (alignto(max(max(totalnumvgprs(_Z16cuda_mat_K_PI_dpPKdPKiiS0_PdS0_.num_agpr, _Z16cuda_mat_K_PI_dpPKdPKiiS0_PdS0_.num_vgpr), 1, 0), 1), 16)/16)-1
; NumSGPRsForWavesPerEU: max(_Z16cuda_mat_K_PI_dpPKdPKiiS0_PdS0_.numbered_sgpr+2, 1, 0)
; NumVGPRsForWavesPerEU: max(totalnumvgprs(_Z16cuda_mat_K_PI_dpPKdPKiiS0_PdS0_.num_agpr, _Z16cuda_mat_K_PI_dpPKdPKiiS0_PdS0_.num_vgpr), 1, 0)
; NamedBarCnt: alignto(_Z16cuda_mat_K_PI_dpPKdPKiiS0_PdS0_.num_named_barrier, 4)/4
; Occupancy: occupancy(16, 16, 1024, 11, 16, max(_Z16cuda_mat_K_PI_dpPKdPKiiS0_PdS0_.numbered_sgpr+extrasgprs(_Z16cuda_mat_K_PI_dpPKdPKiiS0_PdS0_.uses_vcc, _Z16cuda_mat_K_PI_dpPKdPKiiS0_PdS0_.uses_flat_scratch, 1), 1, 0), max(totalnumvgprs(_Z16cuda_mat_K_PI_dpPKdPKiiS0_PdS0_.num_agpr, _Z16cuda_mat_K_PI_dpPKdPKiiS0_PdS0_.num_vgpr), 1, 0))
; WaveLimiterHint : 1
; COMPUTE_PGM_RSRC2:SCRATCH_EN: 1
; COMPUTE_PGM_RSRC2:USER_SGPR: 8
; COMPUTE_PGM_RSRC2:TRAP_HANDLER: 0
; COMPUTE_PGM_RSRC2:TGID_X_EN: 1
; COMPUTE_PGM_RSRC2:TGID_Y_EN: 1
; COMPUTE_PGM_RSRC2:TGID_Z_EN: 1
; COMPUTE_PGM_RSRC2:TIDIG_COMP_CNT: 2
	.text
	.p2alignl 7, 3214868480
	.fill 96, 4, 3214868480
	.section	.AMDGPU.gpr_maximums,"",@progbits
	.set amdgpu.max_num_vgpr, 128
	.set amdgpu.max_num_agpr, 0
	.set amdgpu.max_num_sgpr, 105
	.text
	.type	__hip_cuid_f168fac97a41554d,@object ; @__hip_cuid_f168fac97a41554d
	.section	.bss,"aw",@nobits
	.globl	__hip_cuid_f168fac97a41554d
__hip_cuid_f168fac97a41554d:
	.byte	0                               ; 0x0
	.size	__hip_cuid_f168fac97a41554d, 1

	.hidden	_Z13cuda_binomialii
	.hidden	_Z16cuda_ij2intindexii
	.ident	"AMD clang version 22.0.0git (https://github.com/RadeonOpenCompute/llvm-project roc-7.2.4 26084 f58b06dce1f9c15707c5f808fd002e18c2accf7e)"
	.section	".note.GNU-stack","",@progbits
	.addrsig
	.addrsig_sym __hip_cuid_f168fac97a41554d
	.amdgpu_metadata
---
amdhsa.kernels:
  - .args:
      - .actual_access:  read_only
        .address_space:  global
        .offset:         0
        .size:           8
        .value_kind:     global_buffer
      - .actual_access:  read_only
        .address_space:  global
        .offset:         8
        .size:           8
        .value_kind:     global_buffer
      - .offset:         16
        .size:           4
        .value_kind:     by_value
      - .actual_access:  read_only
        .address_space:  global
        .offset:         24
        .size:           8
        .value_kind:     global_buffer
      - .actual_access:  write_only
        .address_space:  global
        .offset:         32
        .size:           8
        .value_kind:     global_buffer
      - .actual_access:  read_only
        .address_space:  global
        .offset:         40
        .size:           8
        .value_kind:     global_buffer
      - .offset:         48
        .size:           4
        .value_kind:     hidden_block_count_x
      - .offset:         52
        .size:           4
        .value_kind:     hidden_block_count_y
      - .offset:         56
        .size:           4
        .value_kind:     hidden_block_count_z
      - .offset:         60
        .size:           2
        .value_kind:     hidden_group_size_x
      - .offset:         62
        .size:           2
        .value_kind:     hidden_group_size_y
      - .offset:         64
        .size:           2
        .value_kind:     hidden_group_size_z
      - .offset:         66
        .size:           2
        .value_kind:     hidden_remainder_x
      - .offset:         68
        .size:           2
        .value_kind:     hidden_remainder_y
      - .offset:         70
        .size:           2
        .value_kind:     hidden_remainder_z
      - .offset:         88
        .size:           8
        .value_kind:     hidden_global_offset_x
      - .offset:         96
        .size:           8
        .value_kind:     hidden_global_offset_y
      - .offset:         104
        .size:           8
        .value_kind:     hidden_global_offset_z
      - .offset:         112
        .size:           2
        .value_kind:     hidden_grid_dims
      - .offset:         128
        .size:           8
        .value_kind:     hidden_hostcall_buffer
      - .offset:         136
        .size:           8
        .value_kind:     hidden_multigrid_sync_arg
      - .offset:         144
        .size:           8
        .value_kind:     hidden_heap_v1
      - .offset:         152
        .size:           8
        .value_kind:     hidden_default_queue
      - .offset:         160
        .size:           8
        .value_kind:     hidden_completion_action
      - .offset:         248
        .size:           8
        .value_kind:     hidden_queue_ptr
    .group_segment_fixed_size: 512
    .kernarg_segment_align: 8
    .kernarg_segment_size: 304
    .language:       OpenCL C
    .language_version:
      - 2
      - 0
    .max_flat_workgroup_size: 1024
    .name:           _Z16cuda_mat_J_PI_dpPKdPKiiS0_PdS0_
    .private_segment_fixed_size: 1056
    .sgpr_count:     108
    .sgpr_spill_count: 33
    .symbol:         _Z16cuda_mat_J_PI_dpPKdPKiiS0_PdS0_.kd
    .uniform_work_group_size: 1
    .uses_dynamic_stack: true
    .vgpr_count:     128
    .vgpr_spill_count: 12
    .wavefront_size: 32
  - .args:
      - .actual_access:  read_only
        .address_space:  global
        .offset:         0
        .size:           8
        .value_kind:     global_buffer
      - .actual_access:  read_only
        .address_space:  global
        .offset:         8
        .size:           8
        .value_kind:     global_buffer
      - .offset:         16
        .size:           4
        .value_kind:     by_value
      - .actual_access:  read_only
        .address_space:  global
        .offset:         24
        .size:           8
        .value_kind:     global_buffer
      - .actual_access:  write_only
        .address_space:  global
        .offset:         32
        .size:           8
        .value_kind:     global_buffer
      - .actual_access:  read_only
        .address_space:  global
        .offset:         40
        .size:           8
        .value_kind:     global_buffer
      - .offset:         48
        .size:           4
        .value_kind:     hidden_block_count_x
      - .offset:         52
        .size:           4
        .value_kind:     hidden_block_count_y
      - .offset:         56
        .size:           4
        .value_kind:     hidden_block_count_z
      - .offset:         60
        .size:           2
        .value_kind:     hidden_group_size_x
      - .offset:         62
        .size:           2
        .value_kind:     hidden_group_size_y
      - .offset:         64
        .size:           2
        .value_kind:     hidden_group_size_z
      - .offset:         66
        .size:           2
        .value_kind:     hidden_remainder_x
      - .offset:         68
        .size:           2
        .value_kind:     hidden_remainder_y
      - .offset:         70
        .size:           2
        .value_kind:     hidden_remainder_z
      - .offset:         88
        .size:           8
        .value_kind:     hidden_global_offset_x
      - .offset:         96
        .size:           8
        .value_kind:     hidden_global_offset_y
      - .offset:         104
        .size:           8
        .value_kind:     hidden_global_offset_z
      - .offset:         112
        .size:           2
        .value_kind:     hidden_grid_dims
      - .offset:         128
        .size:           8
        .value_kind:     hidden_hostcall_buffer
      - .offset:         136
        .size:           8
        .value_kind:     hidden_multigrid_sync_arg
      - .offset:         144
        .size:           8
        .value_kind:     hidden_heap_v1
      - .offset:         152
        .size:           8
        .value_kind:     hidden_default_queue
      - .offset:         160
        .size:           8
        .value_kind:     hidden_completion_action
      - .offset:         248
        .size:           8
        .value_kind:     hidden_queue_ptr
    .group_segment_fixed_size: 512
    .kernarg_segment_align: 8
    .kernarg_segment_size: 304
    .language:       OpenCL C
    .language_version:
      - 2
      - 0
    .max_flat_workgroup_size: 1024
    .name:           _Z16cuda_mat_K_PI_dpPKdPKiiS0_PdS0_
    .private_segment_fixed_size: 1056
    .sgpr_count:     108
    .sgpr_spill_count: 36
    .symbol:         _Z16cuda_mat_K_PI_dpPKdPKiiS0_PdS0_.kd
    .uniform_work_group_size: 1
    .uses_dynamic_stack: true
    .vgpr_count:     128
    .vgpr_spill_count: 12
    .wavefront_size: 32
amdhsa.target:   amdgcn-amd-amdhsa--gfx1250
amdhsa.version:
  - 1
  - 2
...

	.end_amdgpu_metadata
